;; amdgpu-corpus repo=ROCm/rocFFT kind=compiled arch=gfx906 opt=O3
	.text
	.amdgcn_target "amdgcn-amd-amdhsa--gfx906"
	.amdhsa_code_object_version 6
	.protected	bluestein_single_back_len336_dim1_half_op_CI_CI ; -- Begin function bluestein_single_back_len336_dim1_half_op_CI_CI
	.globl	bluestein_single_back_len336_dim1_half_op_CI_CI
	.p2align	8
	.type	bluestein_single_back_len336_dim1_half_op_CI_CI,@function
bluestein_single_back_len336_dim1_half_op_CI_CI: ; @bluestein_single_back_len336_dim1_half_op_CI_CI
; %bb.0:
	s_load_dwordx4 s[0:3], s[4:5], 0x28
	v_mul_u32_u24_e32 v1, 0x493, v0
	v_lshrrev_b32_e32 v1, 16, v1
	v_lshl_add_u32 v12, s6, 1, v1
	v_mov_b32_e32 v13, 0
	s_waitcnt lgkmcnt(0)
	v_cmp_gt_u64_e32 vcc, s[0:1], v[12:13]
	s_and_saveexec_b64 s[0:1], vcc
	s_cbranch_execz .LBB0_23
; %bb.1:
	s_load_dwordx2 s[12:13], s[4:5], 0x0
	s_load_dwordx2 s[6:7], s[4:5], 0x38
	v_mul_lo_u16_e32 v2, 56, v1
	v_sub_u16_e32 v21, v0, v2
	v_and_b32_e32 v0, 1, v1
	v_mov_b32_e32 v1, 0x150
	v_cmp_eq_u32_e32 vcc, 1, v0
	v_cndmask_b32_e32 v28, 0, v1, vcc
	v_cmp_gt_u16_e32 vcc, 42, v21
	v_lshlrev_b32_e32 v22, 2, v21
	v_lshlrev_b32_e32 v23, 2, v28
	s_and_saveexec_b64 s[8:9], vcc
	s_cbranch_execz .LBB0_3
; %bb.2:
	s_load_dwordx2 s[0:1], s[4:5], 0x18
	s_waitcnt lgkmcnt(0)
	s_load_dwordx4 s[16:19], s[0:1], 0x0
	s_waitcnt lgkmcnt(0)
	v_mad_u64_u32 v[0:1], s[0:1], s18, v12, 0
	v_mad_u64_u32 v[2:3], s[0:1], s16, v21, 0
	;; [unrolled: 1-line block ×4, first 2 shown]
	v_mov_b32_e32 v1, v4
	v_lshlrev_b64 v[0:1], 2, v[0:1]
	v_mov_b32_e32 v3, v5
	v_mov_b32_e32 v6, s3
	v_lshlrev_b64 v[2:3], 2, v[2:3]
	v_add_co_u32_e64 v0, s[0:1], s2, v0
	v_addc_co_u32_e64 v1, s[0:1], v6, v1, s[0:1]
	v_add_co_u32_e64 v0, s[0:1], v0, v2
	v_addc_co_u32_e64 v1, s[0:1], v1, v3, s[0:1]
	s_mul_i32 s0, s17, 0xa8
	s_mul_hi_u32 s1, s16, 0xa8
	s_add_i32 s2, s1, s0
	s_mul_i32 s3, s16, 0xa8
	v_mov_b32_e32 v3, s2
	v_add_co_u32_e64 v2, s[0:1], s3, v0
	v_addc_co_u32_e64 v3, s[0:1], v1, v3, s[0:1]
	global_load_dword v4, v[0:1], off
	global_load_dword v5, v[2:3], off
	global_load_dword v6, v22, s[12:13]
	global_load_dword v7, v22, s[12:13] offset:168
	v_mov_b32_e32 v1, s2
	v_add_co_u32_e64 v0, s[0:1], s3, v2
	v_addc_co_u32_e64 v1, s[0:1], v3, v1, s[0:1]
	global_load_dword v2, v[0:1], off
	global_load_dword v3, v22, s[12:13] offset:336
	v_mov_b32_e32 v8, s2
	v_add_co_u32_e64 v0, s[0:1], s3, v0
	v_addc_co_u32_e64 v1, s[0:1], v1, v8, s[0:1]
	global_load_dword v8, v[0:1], off
	;; [unrolled: 5-line block ×6, first 2 shown]
	global_load_dword v18, v22, s[12:13] offset:1176
	v_lshl_add_u32 v0, v21, 2, v23
	v_add_u32_e32 v1, v23, v22
	s_waitcnt vmcnt(15)
	v_lshrrev_b32_e32 v19, 16, v4
	s_waitcnt vmcnt(13)
	v_mul_f16_sdwa v20, v6, v4 dst_sel:DWORD dst_unused:UNUSED_PAD src0_sel:WORD_1 src1_sel:DWORD
	v_mul_f16_sdwa v24, v6, v19 dst_sel:DWORD dst_unused:UNUSED_PAD src0_sel:WORD_1 src1_sel:DWORD
	v_fma_f16 v19, v6, v19, -v20
	v_lshrrev_b32_e32 v20, 16, v5
	s_waitcnt vmcnt(12)
	v_mul_f16_sdwa v25, v7, v5 dst_sel:DWORD dst_unused:UNUSED_PAD src0_sel:WORD_1 src1_sel:DWORD
	v_fma_f16 v4, v6, v4, v24
	v_mul_f16_sdwa v6, v7, v20 dst_sel:DWORD dst_unused:UNUSED_PAD src0_sel:WORD_1 src1_sel:DWORD
	s_waitcnt vmcnt(11)
	v_lshrrev_b32_e32 v24, 16, v2
	v_fma_f16 v20, v7, v20, -v25
	s_waitcnt vmcnt(10)
	v_mul_f16_sdwa v25, v3, v2 dst_sel:DWORD dst_unused:UNUSED_PAD src0_sel:WORD_1 src1_sel:DWORD
	v_pack_b32_f16 v4, v4, v19
	v_fma_f16 v5, v7, v5, v6
	v_mul_f16_sdwa v6, v3, v24 dst_sel:DWORD dst_unused:UNUSED_PAD src0_sel:WORD_1 src1_sel:DWORD
	s_waitcnt vmcnt(9)
	v_lshrrev_b32_e32 v19, 16, v8
	v_fma_f16 v7, v3, v24, -v25
	s_waitcnt vmcnt(8)
	v_mul_f16_sdwa v24, v9, v8 dst_sel:DWORD dst_unused:UNUSED_PAD src0_sel:WORD_1 src1_sel:DWORD
	v_fma_f16 v2, v3, v2, v6
	v_mul_f16_sdwa v3, v9, v19 dst_sel:DWORD dst_unused:UNUSED_PAD src0_sel:WORD_1 src1_sel:DWORD
	ds_write_b32 v0, v4
	v_pack_b32_f16 v0, v5, v20
	v_fma_f16 v4, v9, v19, -v24
	s_waitcnt vmcnt(7)
	v_lshrrev_b32_e32 v5, 16, v10
	v_pack_b32_f16 v2, v2, v7
	v_fma_f16 v3, v9, v8, v3
	s_waitcnt vmcnt(6)
	v_mul_f16_sdwa v6, v11, v5 dst_sel:DWORD dst_unused:UNUSED_PAD src0_sel:WORD_1 src1_sel:DWORD
	ds_write2_b32 v1, v0, v2 offset0:42 offset1:84
	v_pack_b32_f16 v0, v3, v4
	v_mul_f16_sdwa v3, v11, v10 dst_sel:DWORD dst_unused:UNUSED_PAD src0_sel:WORD_1 src1_sel:DWORD
	v_fma_f16 v2, v11, v10, v6
	v_fma_f16 v3, v11, v5, -v3
	v_pack_b32_f16 v2, v2, v3
	ds_write2_b32 v1, v0, v2 offset0:126 offset1:168
	s_waitcnt vmcnt(5)
	v_lshrrev_b32_e32 v0, 16, v13
	s_waitcnt vmcnt(4)
	v_mul_f16_sdwa v2, v14, v0 dst_sel:DWORD dst_unused:UNUSED_PAD src0_sel:WORD_1 src1_sel:DWORD
	v_mul_f16_sdwa v3, v14, v13 dst_sel:DWORD dst_unused:UNUSED_PAD src0_sel:WORD_1 src1_sel:DWORD
	v_fma_f16 v2, v14, v13, v2
	v_fma_f16 v0, v14, v0, -v3
	v_pack_b32_f16 v0, v2, v0
	s_waitcnt vmcnt(3)
	v_lshrrev_b32_e32 v2, 16, v15
	s_waitcnt vmcnt(2)
	v_mul_f16_sdwa v3, v16, v2 dst_sel:DWORD dst_unused:UNUSED_PAD src0_sel:WORD_1 src1_sel:DWORD
	v_mul_f16_sdwa v4, v16, v15 dst_sel:DWORD dst_unused:UNUSED_PAD src0_sel:WORD_1 src1_sel:DWORD
	v_fma_f16 v3, v16, v15, v3
	v_fma_f16 v2, v16, v2, -v4
	v_pack_b32_f16 v2, v3, v2
	ds_write2_b32 v1, v0, v2 offset0:210 offset1:252
	s_waitcnt vmcnt(1)
	v_lshrrev_b32_e32 v0, 16, v17
	s_waitcnt vmcnt(0)
	v_mul_f16_sdwa v2, v18, v0 dst_sel:DWORD dst_unused:UNUSED_PAD src0_sel:WORD_1 src1_sel:DWORD
	v_mul_f16_sdwa v3, v18, v17 dst_sel:DWORD dst_unused:UNUSED_PAD src0_sel:WORD_1 src1_sel:DWORD
	v_fma_f16 v2, v18, v17, v2
	v_fma_f16 v0, v18, v0, -v3
	v_pack_b32_f16 v0, v2, v0
	ds_write_b32 v1, v0 offset:1176
.LBB0_3:
	s_or_b64 exec, exec, s[8:9]
	s_waitcnt lgkmcnt(0)
	s_barrier
	s_waitcnt lgkmcnt(0)
                                        ; implicit-def: $vgpr0
                                        ; implicit-def: $vgpr4
                                        ; implicit-def: $vgpr2
                                        ; implicit-def: $vgpr6
	s_and_saveexec_b64 s[0:1], vcc
	s_cbranch_execz .LBB0_5
; %bb.4:
	v_lshl_add_u32 v6, v28, 2, v22
	ds_read2_b32 v[0:1], v6 offset1:42
	ds_read2_b32 v[2:3], v6 offset0:84 offset1:126
	ds_read2_b32 v[4:5], v6 offset0:168 offset1:210
	v_add_u32_e32 v6, 0x200, v6
	ds_read2_b32 v[6:7], v6 offset0:124 offset1:166
.LBB0_5:
	s_or_b64 exec, exec, s[0:1]
	s_waitcnt lgkmcnt(1)
	v_pk_add_f16 v4, v0, v4 neg_lo:[0,1] neg_hi:[0,1]
	s_waitcnt lgkmcnt(0)
	v_pk_add_f16 v6, v2, v6 neg_lo:[0,1] neg_hi:[0,1]
	v_pk_add_f16 v5, v1, v5 neg_lo:[0,1] neg_hi:[0,1]
	;; [unrolled: 1-line block ×3, first 2 shown]
	v_lshrrev_b32_e32 v8, 16, v4
	v_add_f16_e32 v10, v6, v8
	v_pk_fma_f16 v0, v0, 2.0, v4 op_sel_hi:[1,0,1] neg_lo:[0,0,1] neg_hi:[0,0,1]
	v_pk_fma_f16 v2, v2, 2.0, v6 op_sel_hi:[1,0,1] neg_lo:[0,0,1] neg_hi:[0,0,1]
	;; [unrolled: 1-line block ×4, first 2 shown]
	v_fma_f16 v13, v8, 2.0, -v10
	v_lshrrev_b32_e32 v8, 16, v5
	v_pk_add_f16 v2, v0, v2 neg_lo:[0,1] neg_hi:[0,1]
	v_pk_add_f16 v3, v1, v3 neg_lo:[0,1] neg_hi:[0,1]
	v_sub_f16_sdwa v9, v4, v6 dst_sel:DWORD dst_unused:UNUSED_PAD src0_sel:DWORD src1_sel:WORD_1
	v_sub_f16_sdwa v15, v5, v7 dst_sel:DWORD dst_unused:UNUSED_PAD src0_sel:DWORD src1_sel:WORD_1
	v_add_f16_e32 v14, v7, v8
	v_pk_fma_f16 v0, v0, 2.0, v2 op_sel_hi:[1,0,1] neg_lo:[0,0,1] neg_hi:[0,0,1]
	v_pk_fma_f16 v1, v1, 2.0, v3 op_sel_hi:[1,0,1] neg_lo:[0,0,1] neg_hi:[0,0,1]
	v_fma_f16 v11, v4, 2.0, -v9
	v_fma_f16 v16, v5, 2.0, -v15
	;; [unrolled: 1-line block ×3, first 2 shown]
	v_pk_add_f16 v8, v0, v1 neg_lo:[0,1] neg_hi:[0,1]
	s_mov_b32 s0, 0xb9a8
	v_pk_fma_f16 v4, v0, 2.0, v8 op_sel_hi:[1,0,1] neg_lo:[0,0,1] neg_hi:[0,0,1]
	v_fma_f16 v0, v16, s0, v11
	s_load_dwordx2 s[2:3], s[4:5], 0x8
	v_fma_f16 v18, v17, s0, v0
	v_lshrrev_b32_e32 v0, 16, v2
	v_fma_f16 v1, v17, s0, v13
	s_movk_i32 s1, 0x39a8
	v_add_f16_e32 v31, v3, v0
	v_fma_f16 v29, v16, s1, v1
	v_fma_f16 v32, v0, 2.0, -v31
	v_fma_f16 v0, v15, s1, v9
	v_fma_f16 v1, v14, s1, v10
	v_fma_f16 v30, v13, 2.0, -v29
	v_sub_f16_sdwa v13, v2, v3 dst_sel:DWORD dst_unused:UNUSED_PAD src0_sel:DWORD src1_sel:WORD_1
	v_fma_f16 v14, v14, s0, v0
	v_fma_f16 v27, v15, s1, v1
	v_fma_f16 v16, v11, 2.0, -v18
	v_fma_f16 v19, v2, 2.0, -v13
	;; [unrolled: 1-line block ×4, first 2 shown]
	v_lshlrev_b16_e32 v25, 3, v21
	s_waitcnt lgkmcnt(0)
	s_barrier
	s_and_saveexec_b64 s[0:1], vcc
	s_cbranch_execz .LBB0_7
; %bb.6:
	s_mov_b32 s8, 0x5040100
	v_add_lshl_u32 v0, v28, v25, 2
	v_perm_b32 v7, v33, v20, s8
	v_perm_b32 v6, v32, v19, s8
	;; [unrolled: 1-line block ×6, first 2 shown]
	ds_write_b128 v0, v[4:7]
	ds_write_b128 v0, v[8:11] offset:16
.LBB0_7:
	s_or_b64 exec, exec, s[0:1]
	s_load_dwordx2 s[4:5], s[4:5], 0x20
	v_cmp_gt_u16_e64 s[0:1], 48, v21
	v_add_lshl_u32 v11, v28, v21, 2
	s_waitcnt lgkmcnt(0)
	s_barrier
	s_and_saveexec_b64 s[8:9], s[0:1]
	s_cbranch_execz .LBB0_9
; %bb.8:
	ds_read2_b32 v[15:16], v11 offset1:48
	ds_read2_b32 v[19:20], v11 offset0:96 offset1:144
	ds_read2_b32 v[17:18], v11 offset0:192 offset1:240
	ds_read_b32 v13, v11 offset:1152
	s_waitcnt lgkmcnt(3)
	v_lshrrev_b32_e32 v30, 16, v16
	s_waitcnt lgkmcnt(2)
	v_lshrrev_b32_e32 v32, 16, v19
	v_lshrrev_b32_e32 v33, 16, v20
	s_waitcnt lgkmcnt(1)
	v_lshrrev_b32_e32 v29, 16, v18
	s_waitcnt lgkmcnt(0)
	v_lshrrev_b32_e32 v31, 16, v13
	v_mov_b32_e32 v4, v15
	v_mov_b32_e32 v8, v17
.LBB0_9:
	s_or_b64 exec, exec, s[8:9]
	v_and_b32_e32 v24, 7, v21
	v_mul_u32_u24_e32 v0, 6, v24
	v_lshlrev_b32_e32 v5, 2, v0
	global_load_dwordx4 v[0:3], v5, s[2:3]
	global_load_dwordx2 v[9:10], v5, s[2:3] offset:16
	s_movk_i32 s8, 0x2b26
	s_mov_b32 s10, 0xb846
	s_mov_b32 s11, 0xbcab
	s_movk_i32 s9, 0x370e
	v_lshrrev_b32_e32 v26, 3, v21
	s_waitcnt vmcnt(0)
	s_barrier
	v_mul_f16_sdwa v5, v8, v3 dst_sel:DWORD dst_unused:UNUSED_PAD src0_sel:WORD_1 src1_sel:WORD_1
	v_mul_f16_sdwa v6, v30, v0 dst_sel:DWORD dst_unused:UNUSED_PAD src0_sel:DWORD src1_sel:WORD_1
	v_mul_f16_sdwa v7, v16, v0 dst_sel:DWORD dst_unused:UNUSED_PAD src0_sel:DWORD src1_sel:WORD_1
	;; [unrolled: 1-line block ×9, first 2 shown]
	v_mul_f16_sdwa v17, v8, v3 dst_sel:DWORD dst_unused:UNUSED_PAD src0_sel:WORD_1 src1_sel:DWORD
	v_mul_f16_sdwa v34, v8, v3 dst_sel:DWORD dst_unused:UNUSED_PAD src0_sel:DWORD src1_sel:WORD_1
	v_mul_f16_sdwa v37, v20, v2 dst_sel:DWORD dst_unused:UNUSED_PAD src0_sel:DWORD src1_sel:WORD_1
	v_mul_f16_e32 v33, v33, v2
	v_fma_f16 v42, v8, v3, -v5
	v_fma_f16 v43, v16, v0, -v6
	;; [unrolled: 1-line block ×5, first 2 shown]
	v_fma_f16 v5, v30, v0, v7
	v_fma_f16 v6, v32, v1, v36
	;; [unrolled: 1-line block ×3, first 2 shown]
	v_fma_f16 v13, v13, v10, -v40
	v_fma_f16 v8, v31, v10, v41
	v_add_f16_e32 v7, v5, v8
	v_sub_f16_e32 v15, v43, v13
	v_sub_f16_e32 v5, v5, v8
	v_add_f16_e32 v8, v6, v16
	v_sub_f16_e32 v6, v6, v16
	v_sub_f16_e32 v16, v19, v18
	v_pack_b32_f16 v17, v43, v17
	v_sub_f16_e32 v29, v42, v20
	v_pack_b32_f16 v13, v13, v34
	v_pack_b32_f16 v19, v19, v33
	;; [unrolled: 1-line block ×3, first 2 shown]
	v_add_f16_e32 v30, v29, v16
	v_pk_add_f16 v17, v17, v13
	v_pk_add_f16 v18, v19, v18
	v_pack_b32_f16 v13, v20, v8
	v_pack_b32_f16 v19, v42, v7
	v_sub_f16_e32 v32, v29, v16
	v_sub_f16_e32 v29, v15, v29
	v_add_f16_e32 v35, v30, v15
	v_pk_add_f16 v30, v18, v17
	v_pk_add_f16 v13, v13, v19
	v_sub_f16_sdwa v20, v17, v18 dst_sel:DWORD dst_unused:UNUSED_PAD src0_sel:WORD_1 src1_sel:WORD_1
	v_mul_f16_e32 v34, 0x3574, v29
	v_pk_add_f16 v29, v30, v13
	v_sub_f16_e32 v19, v17, v13
	v_sub_f16_sdwa v31, v7, v30 dst_sel:DWORD dst_unused:UNUSED_PAD src0_sel:DWORD src1_sel:WORD_1
	v_sub_f16_e32 v41, v13, v18
	v_add_f16_e32 v13, v20, v6
	v_sub_f16_e32 v40, v20, v6
	v_sub_f16_e32 v20, v5, v20
	v_pk_add_f16 v4, v4, v29
	v_sub_f16_sdwa v42, v30, v8 dst_sel:DWORD dst_unused:UNUSED_PAD src0_sel:WORD_1 src1_sel:DWORD
	v_lshrrev_b32_e32 v33, 16, v29
	v_add_f16_e32 v43, v13, v5
	v_mul_f16_e32 v37, 0x3a52, v19
	v_mul_f16_e32 v39, 0x3a52, v31
	;; [unrolled: 1-line block ×3, first 2 shown]
	v_lshrrev_b32_e32 v13, 16, v4
	v_fma_f16 v30, v32, s10, v34
	v_fma_f16 v31, v29, s11, v4
	;; [unrolled: 1-line block ×7, first 2 shown]
	v_add_f16_e32 v20, v20, v31
	v_fma_f16 v30, v43, s9, v29
	v_add_f16_e32 v33, v44, v38
	v_add_f16_e32 v29, v19, v33
	v_sub_f16_e32 v13, v20, v30
	s_and_saveexec_b64 s[8:9], s[0:1]
	s_cbranch_execz .LBB0_11
; %bb.10:
	v_sub_f16_e32 v15, v16, v15
	s_mov_b32 s10, 0xbb00
	v_sub_f16_e32 v7, v8, v7
	s_mov_b32 s11, 0xb9e0
	v_sub_f16_e32 v17, v18, v17
	v_sub_f16_e32 v5, v6, v5
	v_mul_f16_e32 v41, 0x2b26, v41
	v_mul_f16_e32 v40, 0xb846, v40
	v_fma_f16 v16, v15, s10, -v34
	v_fma_f16 v8, v7, s11, -v39
	;; [unrolled: 1-line block ×4, first 2 shown]
	s_movk_i32 s10, 0x39e0
	s_movk_i32 s11, 0x3b00
	v_mul_f16_e32 v42, 0x2b26, v42
	v_mul_f16_e32 v43, 0x370e, v43
	;; [unrolled: 1-line block ×3, first 2 shown]
	v_fma_f16 v5, v5, s11, -v40
	v_fma_f16 v17, v17, s10, -v41
	v_mul_f16_e32 v35, 0x370e, v35
	v_fma_f16 v7, v7, s10, -v42
	v_fma_f16 v15, v15, s11, -v32
	v_add_f16_e32 v5, v43, v5
	v_add_f16_e32 v17, v17, v31
	;; [unrolled: 1-line block ×8, first 2 shown]
	v_sub_f16_e32 v5, v17, v5
	v_mul_u32_u24_e32 v17, 56, v26
	v_add_f16_e32 v34, v16, v8
	v_add_f16_e32 v6, v43, v6
	v_sub_f16_e32 v32, v7, v15
	v_add_f16_e32 v7, v15, v7
	v_sub_f16_e32 v8, v8, v16
	v_sub_f16_e32 v15, v33, v19
	v_add_f16_e32 v16, v30, v20
	v_or_b32_e32 v17, v17, v24
	v_sub_f16_e32 v36, v18, v6
	v_add_f16_e32 v6, v6, v18
	v_add_lshl_u32 v17, v28, v17, 2
	v_pack_b32_f16 v15, v16, v15
	ds_write2_b32 v17, v4, v15 offset1:8
	v_pack_b32_f16 v4, v6, v8
	v_pack_b32_f16 v5, v5, v7
	ds_write2_b32 v17, v4, v5 offset0:16 offset1:24
	v_pack_b32_f16 v4, v31, v32
	v_pack_b32_f16 v5, v36, v34
	s_mov_b32 s10, 0x5040100
	ds_write2_b32 v17, v4, v5 offset0:32 offset1:40
	v_perm_b32 v4, v29, v13, s10
	ds_write_b32 v17, v4 offset:192
.LBB0_11:
	s_or_b64 exec, exec, s[8:9]
	v_mad_u64_u32 v[15:16], s[2:3], v21, 20, s[2:3]
	s_load_dwordx4 s[8:11], s[4:5], 0x0
	s_waitcnt lgkmcnt(0)
	s_barrier
	global_load_dwordx4 v[4:7], v[15:16], off offset:192
	global_load_dword v28, v[15:16], off offset:208
	v_add_u32_e32 v19, 0x200, v11
	ds_read2_b32 v[15:16], v11 offset1:56
	ds_read2_b32 v[17:18], v11 offset0:112 offset1:168
	ds_read2_b32 v[19:20], v19 offset0:96 offset1:152
	s_movk_i32 s2, 0x3aee
	s_mov_b32 s3, 0xbaee
	s_waitcnt lgkmcnt(2)
	v_lshrrev_b32_e32 v31, 16, v16
	s_waitcnt lgkmcnt(1)
	v_lshrrev_b32_e32 v32, 16, v17
	v_lshrrev_b32_e32 v33, 16, v18
	s_waitcnt lgkmcnt(0)
	v_lshrrev_b32_e32 v34, 16, v19
	v_lshrrev_b32_e32 v35, 16, v20
	;; [unrolled: 1-line block ×3, first 2 shown]
	v_lshl_add_u32 v8, v21, 2, v23
	s_waitcnt vmcnt(1)
	v_mul_f16_sdwa v37, v16, v4 dst_sel:DWORD dst_unused:UNUSED_PAD src0_sel:DWORD src1_sel:WORD_1
	v_mul_f16_sdwa v38, v32, v5 dst_sel:DWORD dst_unused:UNUSED_PAD src0_sel:DWORD src1_sel:WORD_1
	;; [unrolled: 1-line block ×7, first 2 shown]
	s_waitcnt vmcnt(0)
	v_mul_f16_sdwa v44, v35, v28 dst_sel:DWORD dst_unused:UNUSED_PAD src0_sel:DWORD src1_sel:WORD_1
	v_mul_f16_sdwa v45, v20, v28 dst_sel:DWORD dst_unused:UNUSED_PAD src0_sel:DWORD src1_sel:WORD_1
	;; [unrolled: 1-line block ×3, first 2 shown]
	v_fma_f16 v31, v31, v4, v37
	v_fma_f16 v17, v17, v5, -v38
	v_fma_f16 v32, v32, v5, v39
	v_fma_f16 v18, v18, v6, -v40
	;; [unrolled: 2-line block ×5, first 2 shown]
	v_add_f16_e32 v37, v17, v19
	v_sub_f16_e32 v38, v32, v34
	v_add_f16_e32 v39, v30, v32
	v_add_f16_e32 v32, v32, v34
	v_add_f16_e32 v41, v18, v20
	v_sub_f16_e32 v42, v33, v35
	v_add_f16_e32 v43, v31, v33
	v_add_f16_e32 v33, v33, v35
	;; [unrolled: 1-line block ×3, first 2 shown]
	v_sub_f16_e32 v17, v17, v19
	v_add_f16_e32 v40, v16, v18
	v_sub_f16_e32 v18, v18, v20
	v_fma_f16 v15, v37, -0.5, v15
	v_fma_f16 v30, v32, -0.5, v30
	;; [unrolled: 1-line block ×4, first 2 shown]
	v_add_f16_e32 v19, v36, v19
	v_add_f16_e32 v34, v39, v34
	;; [unrolled: 1-line block ×4, first 2 shown]
	v_fma_f16 v35, v38, s2, v15
	v_fma_f16 v36, v38, s3, v15
	;; [unrolled: 1-line block ×8, first 2 shown]
	v_add_f16_e32 v15, v19, v20
	v_add_f16_e32 v31, v34, v32
	v_sub_f16_e32 v18, v19, v20
	v_sub_f16_e32 v30, v34, v32
	v_mul_f16_e32 v19, 0x3aee, v33
	v_mul_f16_e32 v20, -0.5, v16
	v_mul_f16_e32 v32, 0xbaee, v17
	v_mul_f16_e32 v34, -0.5, v39
	v_fma_f16 v19, v17, 0.5, v19
	v_fma_f16 v20, v39, s2, v20
	v_fma_f16 v39, v33, 0.5, v32
	v_fma_f16 v34, v16, s3, v34
	v_add_f16_e32 v16, v35, v19
	v_add_f16_e32 v17, v36, v20
	;; [unrolled: 1-line block ×4, first 2 shown]
	v_pack_b32_f16 v40, v15, v31
	v_sub_f16_e32 v19, v35, v19
	v_sub_f16_e32 v20, v36, v20
	;; [unrolled: 1-line block ×4, first 2 shown]
	v_pack_b32_f16 v36, v16, v32
	v_pack_b32_f16 v37, v17, v33
	;; [unrolled: 1-line block ×3, first 2 shown]
	ds_write2_b32 v8, v40, v36 offset1:56
	ds_write2_b32 v8, v37, v41 offset0:112 offset1:168
	v_pack_b32_f16 v37, v19, v35
	v_pack_b32_f16 v38, v20, v34
	v_add_u32_e32 v36, 0x200, v8
	ds_write2_b32 v36, v37, v38 offset0:96 offset1:152
	s_waitcnt lgkmcnt(0)
	s_barrier
	s_and_saveexec_b64 s[2:3], vcc
	s_cbranch_execz .LBB0_13
; %bb.12:
	global_load_dword v40, v22, s[12:13] offset:1344
	ds_read2_b32 v[37:38], v8 offset1:42
	s_add_u32 s4, s12, 0x540
	s_addc_u32 s5, s13, 0
	s_waitcnt lgkmcnt(0)
	v_lshrrev_b32_e32 v39, 16, v37
	s_waitcnt vmcnt(0)
	v_mul_f16_sdwa v41, v39, v40 dst_sel:DWORD dst_unused:UNUSED_PAD src0_sel:DWORD src1_sel:WORD_1
	v_fma_f16 v41, v37, v40, -v41
	v_mul_f16_sdwa v37, v37, v40 dst_sel:DWORD dst_unused:UNUSED_PAD src0_sel:DWORD src1_sel:WORD_1
	v_fma_f16 v37, v39, v40, v37
	global_load_dword v40, v22, s[4:5] offset:168
	v_lshrrev_b32_e32 v39, 16, v38
	v_pack_b32_f16 v37, v41, v37
	s_waitcnt vmcnt(0)
	v_mul_f16_sdwa v41, v39, v40 dst_sel:DWORD dst_unused:UNUSED_PAD src0_sel:DWORD src1_sel:WORD_1
	v_fma_f16 v41, v38, v40, -v41
	v_mul_f16_sdwa v38, v38, v40 dst_sel:DWORD dst_unused:UNUSED_PAD src0_sel:DWORD src1_sel:WORD_1
	v_fma_f16 v38, v39, v40, v38
	global_load_dword v40, v22, s[4:5] offset:336
	v_pack_b32_f16 v38, v41, v38
	ds_write2_b32 v8, v37, v38 offset1:42
	ds_read2_b32 v[37:38], v8 offset0:84 offset1:126
	s_waitcnt lgkmcnt(0)
	v_lshrrev_b32_e32 v39, 16, v37
	s_waitcnt vmcnt(0)
	v_mul_f16_sdwa v41, v39, v40 dst_sel:DWORD dst_unused:UNUSED_PAD src0_sel:DWORD src1_sel:WORD_1
	v_fma_f16 v41, v37, v40, -v41
	v_mul_f16_sdwa v37, v37, v40 dst_sel:DWORD dst_unused:UNUSED_PAD src0_sel:DWORD src1_sel:WORD_1
	v_fma_f16 v37, v39, v40, v37
	global_load_dword v40, v22, s[4:5] offset:504
	v_lshrrev_b32_e32 v39, 16, v38
	v_pack_b32_f16 v37, v41, v37
	s_waitcnt vmcnt(0)
	v_mul_f16_sdwa v41, v39, v40 dst_sel:DWORD dst_unused:UNUSED_PAD src0_sel:DWORD src1_sel:WORD_1
	v_fma_f16 v41, v38, v40, -v41
	v_mul_f16_sdwa v38, v38, v40 dst_sel:DWORD dst_unused:UNUSED_PAD src0_sel:DWORD src1_sel:WORD_1
	v_fma_f16 v38, v39, v40, v38
	global_load_dword v40, v22, s[4:5] offset:672
	v_pack_b32_f16 v38, v41, v38
	ds_write2_b32 v8, v37, v38 offset0:84 offset1:126
	ds_read2_b32 v[37:38], v8 offset0:168 offset1:210
	s_waitcnt lgkmcnt(0)
	v_lshrrev_b32_e32 v39, 16, v37
	s_waitcnt vmcnt(0)
	v_mul_f16_sdwa v41, v39, v40 dst_sel:DWORD dst_unused:UNUSED_PAD src0_sel:DWORD src1_sel:WORD_1
	v_fma_f16 v41, v37, v40, -v41
	v_mul_f16_sdwa v37, v37, v40 dst_sel:DWORD dst_unused:UNUSED_PAD src0_sel:DWORD src1_sel:WORD_1
	v_fma_f16 v37, v39, v40, v37
	global_load_dword v40, v22, s[4:5] offset:840
	v_lshrrev_b32_e32 v39, 16, v38
	v_pack_b32_f16 v37, v41, v37
	s_waitcnt vmcnt(0)
	v_mul_f16_sdwa v41, v39, v40 dst_sel:DWORD dst_unused:UNUSED_PAD src0_sel:DWORD src1_sel:WORD_1
	v_fma_f16 v41, v38, v40, -v41
	v_mul_f16_sdwa v38, v38, v40 dst_sel:DWORD dst_unused:UNUSED_PAD src0_sel:DWORD src1_sel:WORD_1
	v_fma_f16 v38, v39, v40, v38
	global_load_dword v40, v22, s[4:5] offset:1008
	v_pack_b32_f16 v38, v41, v38
	ds_write2_b32 v8, v37, v38 offset0:168 offset1:210
	ds_read2_b32 v[37:38], v36 offset0:124 offset1:166
	s_waitcnt lgkmcnt(0)
	v_lshrrev_b32_e32 v39, 16, v37
	s_waitcnt vmcnt(0)
	v_mul_f16_sdwa v41, v39, v40 dst_sel:DWORD dst_unused:UNUSED_PAD src0_sel:DWORD src1_sel:WORD_1
	v_fma_f16 v41, v37, v40, -v41
	v_mul_f16_sdwa v37, v37, v40 dst_sel:DWORD dst_unused:UNUSED_PAD src0_sel:DWORD src1_sel:WORD_1
	v_fma_f16 v37, v39, v40, v37
	global_load_dword v40, v22, s[4:5] offset:1176
	v_lshrrev_b32_e32 v39, 16, v38
	v_pack_b32_f16 v37, v41, v37
	s_waitcnt vmcnt(0)
	v_mul_f16_sdwa v41, v39, v40 dst_sel:DWORD dst_unused:UNUSED_PAD src0_sel:DWORD src1_sel:WORD_1
	v_fma_f16 v41, v38, v40, -v41
	v_mul_f16_sdwa v38, v38, v40 dst_sel:DWORD dst_unused:UNUSED_PAD src0_sel:DWORD src1_sel:WORD_1
	v_fma_f16 v38, v39, v40, v38
	v_pack_b32_f16 v38, v41, v38
	ds_write2_b32 v36, v37, v38 offset0:124 offset1:166
.LBB0_13:
	s_or_b64 exec, exec, s[2:3]
	s_waitcnt lgkmcnt(0)
	s_barrier
	s_and_saveexec_b64 s[2:3], vcc
	s_cbranch_execz .LBB0_15
; %bb.14:
	v_add_u32_e32 v13, 0x200, v8
	ds_read2_b32 v[15:16], v8 offset1:42
	ds_read2_b32 v[17:18], v8 offset0:84 offset1:126
	ds_read2_b32 v[19:20], v8 offset0:168 offset1:210
	;; [unrolled: 1-line block ×3, first 2 shown]
	s_waitcnt lgkmcnt(3)
	v_lshrrev_b32_e32 v31, 16, v15
	v_lshrrev_b32_e32 v32, 16, v16
	s_waitcnt lgkmcnt(2)
	v_lshrrev_b32_e32 v33, 16, v17
	v_lshrrev_b32_e32 v30, 16, v18
	;; [unrolled: 3-line block ×4, first 2 shown]
.LBB0_15:
	s_or_b64 exec, exec, s[2:3]
	v_sub_f16_e32 v20, v16, v20
	v_sub_f16_e32 v34, v32, v34
	v_sub_f16_e32 v14, v18, v14
	v_sub_f16_e32 v27, v30, v27
	v_sub_f16_e32 v35, v31, v35
	v_sub_f16_e32 v29, v33, v29
	v_fma_f16 v16, v16, 2.0, -v20
	v_fma_f16 v32, v32, 2.0, -v34
	;; [unrolled: 1-line block ×4, first 2 shown]
	v_sub_f16_e32 v19, v15, v19
	v_fma_f16 v31, v31, 2.0, -v35
	v_sub_f16_e32 v13, v17, v13
	v_fma_f16 v33, v33, 2.0, -v29
	v_sub_f16_e32 v18, v16, v18
	v_sub_f16_e32 v39, v32, v30
	v_fma_f16 v15, v15, 2.0, -v19
	v_fma_f16 v17, v17, 2.0, -v13
	v_sub_f16_e32 v36, v31, v33
	v_add_f16_e32 v37, v29, v19
	v_sub_f16_e32 v38, v35, v13
	v_fma_f16 v13, v16, 2.0, -v18
	v_fma_f16 v16, v32, 2.0, -v39
	v_add_f16_e32 v32, v27, v20
	v_sub_f16_e32 v40, v34, v14
	v_sub_f16_e32 v17, v15, v17
	v_fma_f16 v31, v31, 2.0, -v36
	v_fma_f16 v29, v19, 2.0, -v37
	;; [unrolled: 1-line block ×5, first 2 shown]
	s_mov_b32 s2, 0xb9a8
	v_fma_f16 v33, v15, 2.0, -v17
	v_sub_f16_e32 v20, v31, v16
	v_fma_f16 v16, v14, s2, v29
	v_fma_f16 v30, v27, s2, v35
	s_movk_i32 s3, 0x39a8
	v_sub_f16_e32 v15, v33, v13
	v_fma_f16 v16, v27, s3, v16
	v_fma_f16 v27, v14, s2, v30
	v_fma_f16 v13, v33, 2.0, -v15
	v_fma_f16 v30, v35, 2.0, -v27
	v_sub_f16_e32 v33, v36, v18
	v_fma_f16 v18, v32, s3, v37
	v_fma_f16 v35, v40, s3, v38
	v_fma_f16 v19, v31, 2.0, -v20
	v_add_f16_e32 v31, v39, v17
	v_fma_f16 v34, v40, s3, v18
	v_fma_f16 v35, v32, s2, v35
	v_fma_f16 v14, v29, 2.0, -v16
	v_fma_f16 v17, v17, 2.0, -v31
	;; [unrolled: 1-line block ×5, first 2 shown]
	s_barrier
	s_and_saveexec_b64 s[2:3], vcc
	s_cbranch_execz .LBB0_17
; %bb.16:
	s_mov_b32 s4, 0x5040100
	v_lshl_add_u32 v25, v25, 2, v23
	v_perm_b32 v39, v32, v18, s4
	v_perm_b32 v38, v29, v17, s4
	;; [unrolled: 1-line block ×4, first 2 shown]
	ds_write_b128 v25, v[36:39]
	v_perm_b32 v37, v35, v34, s4
	v_perm_b32 v36, v33, v31, s4
	;; [unrolled: 1-line block ×4, first 2 shown]
	ds_write_b128 v25, v[34:37] offset:16
.LBB0_17:
	s_or_b64 exec, exec, s[2:3]
	s_waitcnt lgkmcnt(0)
	s_barrier
	s_and_saveexec_b64 s[2:3], s[0:1]
	s_cbranch_execz .LBB0_19
; %bb.18:
	ds_read2_b32 v[13:14], v11 offset1:48
	ds_read2_b32 v[17:18], v11 offset0:96 offset1:144
	ds_read2_b32 v[15:16], v11 offset0:192 offset1:240
	ds_read_b32 v31, v11 offset:1152
	s_waitcnt lgkmcnt(3)
	v_lshrrev_b32_e32 v19, 16, v13
	v_lshrrev_b32_e32 v30, 16, v14
	s_waitcnt lgkmcnt(2)
	v_lshrrev_b32_e32 v29, 16, v17
	v_lshrrev_b32_e32 v32, 16, v18
	;; [unrolled: 3-line block ×3, first 2 shown]
	s_waitcnt lgkmcnt(0)
	v_lshrrev_b32_e32 v33, 16, v31
.LBB0_19:
	s_or_b64 exec, exec, s[2:3]
	s_barrier
	s_and_saveexec_b64 s[2:3], s[0:1]
	s_cbranch_execz .LBB0_21
; %bb.20:
	v_mul_f16_sdwa v41, v9, v27 dst_sel:DWORD dst_unused:UNUSED_PAD src0_sel:WORD_1 src1_sel:DWORD
	v_mul_f16_sdwa v25, v0, v30 dst_sel:DWORD dst_unused:UNUSED_PAD src0_sel:WORD_1 src1_sel:DWORD
	;; [unrolled: 1-line block ×5, first 2 shown]
	v_fma_f16 v41, v9, v16, v41
	v_mul_f16_sdwa v16, v9, v16 dst_sel:DWORD dst_unused:UNUSED_PAD src0_sel:WORD_1 src1_sel:DWORD
	v_fma_f16 v25, v0, v14, v25
	v_fma_f16 v34, v10, v31, v34
	;; [unrolled: 1-line block ×4, first 2 shown]
	v_mul_f16_sdwa v40, v1, v29 dst_sel:DWORD dst_unused:UNUSED_PAD src0_sel:WORD_1 src1_sel:DWORD
	v_mul_f16_sdwa v31, v10, v31 dst_sel:DWORD dst_unused:UNUSED_PAD src0_sel:WORD_1 src1_sel:DWORD
	;; [unrolled: 1-line block ×5, first 2 shown]
	v_fma_f16 v9, v9, v27, -v16
	v_mul_f16_sdwa v16, v1, v17 dst_sel:DWORD dst_unused:UNUSED_PAD src0_sel:WORD_1 src1_sel:DWORD
	v_fma_f16 v40, v1, v17, v40
	v_fma_f16 v10, v10, v33, -v31
	v_fma_f16 v0, v0, v30, -v14
	;; [unrolled: 1-line block ×5, first 2 shown]
	v_sub_f16_e32 v35, v25, v34
	v_sub_f16_e32 v38, v36, v37
	;; [unrolled: 1-line block ×3, first 2 shown]
	v_add_f16_e32 v14, v10, v0
	v_add_f16_e32 v15, v3, v2
	;; [unrolled: 1-line block ×6, first 2 shown]
	v_sub_f16_e32 v0, v0, v10
	v_sub_f16_e32 v2, v3, v2
	;; [unrolled: 1-line block ×5, first 2 shown]
	v_add_f16_e32 v38, v38, v42
	v_sub_f16_e32 v18, v14, v15
	v_add_f16_e32 v27, v16, v14
	v_sub_f16_e32 v30, v25, v29
	;; [unrolled: 2-line block ×3, first 2 shown]
	v_sub_f16_e32 v9, v2, v1
	v_add_f16_e32 v2, v2, v1
	v_mul_f16_e32 v43, 0x3846, v43
	s_mov_b32 s0, 0xb574
	v_add_f16_e32 v38, v38, v35
	v_mul_f16_e32 v18, 0x3a52, v18
	v_sub_f16_e32 v17, v15, v16
	s_movk_i32 s4, 0x2b26
	v_add_f16_e32 v15, v15, v27
	v_mul_f16_e32 v30, 0x3a52, v30
	v_sub_f16_e32 v32, v29, v31
	v_add_f16_e32 v29, v29, v34
	v_mul_f16_e32 v9, 0x3846, v9
	v_add_f16_e32 v2, v2, v0
	v_sub_f16_e32 v35, v42, v35
	v_sub_f16_e32 v0, v1, v0
	v_fma_f16 v44, v39, s0, v43
	v_mul_f16_e32 v20, 0x2b26, v17
	v_fma_f16 v17, v17, s4, v18
	v_add_f16_e32 v19, v19, v15
	s_mov_b32 s5, 0xbcab
	v_mul_f16_e32 v33, 0x2b26, v32
	v_fma_f16 v32, v32, s4, v30
	v_add_f16_e32 v13, v13, v29
	v_fma_f16 v10, v3, s0, v9
	s_mov_b32 s0, 0xbb00
	v_mul_f16_e32 v36, 0xbb00, v35
	s_movk_i32 s4, 0x3574
	v_mul_f16_e32 v1, 0xbb00, v0
	s_mov_b32 s1, 0xb70e
	v_fma_f16 v15, v15, s5, v19
	v_fma_f16 v29, v29, s5, v13
	v_fma_f16 v36, v39, s4, -v36
	v_sub_f16_e32 v14, v16, v14
	s_mov_b32 s5, 0xb9e0
	v_sub_f16_e32 v25, v31, v25
	v_fma_f16 v1, v3, s4, -v1
	s_movk_i32 s4, 0x39e0
	v_fma_f16 v0, v0, s0, -v9
	v_fma_f16 v10, v2, s1, v10
	v_fma_f16 v16, v14, s5, -v18
	v_fma_f16 v1, v2, s1, v1
	;; [unrolled: 2-line block ×3, first 2 shown]
	v_fma_f16 v2, v25, s4, -v33
	v_add_f16_e32 v17, v17, v15
	v_fma_f16 v36, v38, s1, v36
	v_add_f16_e32 v16, v16, v15
	v_fma_f16 v30, v25, s5, -v30
	v_add_f16_e32 v14, v14, v15
	v_fma_f16 v15, v35, s0, -v43
	v_add_f16_e32 v2, v2, v29
	v_add_f16_e32 v18, v36, v16
	;; [unrolled: 1-line block ×3, first 2 shown]
	v_fma_f16 v15, v38, s1, v15
	v_add_f16_e32 v9, v0, v2
	v_sub_f16_e32 v0, v2, v0
	v_sub_f16_e32 v2, v16, v36
	v_mul_u32_u24_e32 v16, 56, v26
	v_sub_f16_e32 v3, v30, v1
	v_sub_f16_e32 v20, v14, v15
	v_add_f16_e32 v14, v15, v14
	v_add_f16_e32 v1, v1, v30
	v_or_b32_e32 v16, v16, v24
	v_fma_f16 v44, v38, s1, v44
	v_add_f16_e32 v32, v32, v29
	v_lshl_add_u32 v16, v16, 2, v23
	v_pack_b32_f16 v1, v1, v2
	v_pack_b32_f16 v0, v0, v14
	v_add_f16_e32 v27, v44, v17
	v_sub_f16_e32 v34, v32, v10
	v_sub_f16_e32 v15, v17, v44
	v_add_f16_e32 v10, v10, v32
	ds_write2_b32 v16, v1, v0 offset0:16 offset1:24
	v_pack_b32_f16 v0, v9, v20
	v_pack_b32_f16 v1, v3, v18
	;; [unrolled: 1-line block ×4, first 2 shown]
	ds_write2_b32 v16, v0, v1 offset0:32 offset1:40
	v_pack_b32_f16 v0, v34, v27
	ds_write2_b32 v16, v13, v10 offset1:8
	ds_write_b32 v16, v0 offset:192
.LBB0_21:
	s_or_b64 exec, exec, s[2:3]
	s_waitcnt lgkmcnt(0)
	s_barrier
	ds_read2_b32 v[0:1], v11 offset1:56
	ds_read2_b32 v[2:3], v11 offset0:112 offset1:168
	v_add_u32_e32 v9, 0x200, v11
	ds_read2_b32 v[9:10], v9 offset0:96 offset1:152
	s_mov_b32 s0, 0xbaee
	s_waitcnt lgkmcnt(2)
	v_lshrrev_b32_e32 v13, 16, v1
	v_mul_f16_sdwa v18, v4, v13 dst_sel:DWORD dst_unused:UNUSED_PAD src0_sel:WORD_1 src1_sel:DWORD
	s_waitcnt lgkmcnt(1)
	v_lshrrev_b32_e32 v14, 16, v2
	v_fma_f16 v18, v4, v1, v18
	v_mul_f16_sdwa v1, v4, v1 dst_sel:DWORD dst_unused:UNUSED_PAD src0_sel:WORD_1 src1_sel:DWORD
	v_fma_f16 v1, v4, v13, -v1
	v_mul_f16_sdwa v4, v5, v14 dst_sel:DWORD dst_unused:UNUSED_PAD src0_sel:WORD_1 src1_sel:DWORD
	v_lshrrev_b32_e32 v15, 16, v3
	v_fma_f16 v4, v5, v2, v4
	v_mul_f16_sdwa v2, v5, v2 dst_sel:DWORD dst_unused:UNUSED_PAD src0_sel:WORD_1 src1_sel:DWORD
	v_fma_f16 v2, v5, v14, -v2
	v_mul_f16_sdwa v5, v6, v15 dst_sel:DWORD dst_unused:UNUSED_PAD src0_sel:WORD_1 src1_sel:DWORD
	s_waitcnt lgkmcnt(0)
	v_lshrrev_b32_e32 v16, 16, v9
	v_fma_f16 v5, v6, v3, v5
	v_mul_f16_sdwa v3, v6, v3 dst_sel:DWORD dst_unused:UNUSED_PAD src0_sel:WORD_1 src1_sel:DWORD
	v_fma_f16 v3, v6, v15, -v3
	v_mul_f16_sdwa v6, v7, v16 dst_sel:DWORD dst_unused:UNUSED_PAD src0_sel:WORD_1 src1_sel:DWORD
	v_fma_f16 v6, v7, v9, v6
	v_mul_f16_sdwa v9, v7, v9 dst_sel:DWORD dst_unused:UNUSED_PAD src0_sel:WORD_1 src1_sel:DWORD
	v_lshrrev_b32_e32 v17, 16, v10
	v_fma_f16 v7, v7, v16, -v9
	v_add_f16_e32 v14, v4, v6
	v_lshrrev_b32_e32 v11, 16, v0
	v_mul_f16_sdwa v9, v28, v17 dst_sel:DWORD dst_unused:UNUSED_PAD src0_sel:WORD_1 src1_sel:DWORD
	v_add_f16_e32 v13, v0, v4
	v_fma_f16 v0, v14, -0.5, v0
	v_sub_f16_e32 v14, v2, v7
	s_movk_i32 s1, 0x3aee
	v_fma_f16 v9, v28, v10, v9
	v_mul_f16_sdwa v10, v28, v10 dst_sel:DWORD dst_unused:UNUSED_PAD src0_sel:WORD_1 src1_sel:DWORD
	v_fma_f16 v15, v14, s0, v0
	v_fma_f16 v0, v14, s1, v0
	v_add_f16_e32 v14, v11, v2
	v_fma_f16 v10, v28, v17, -v10
	v_add_f16_e32 v14, v14, v7
	v_add_f16_e32 v2, v2, v7
	;; [unrolled: 1-line block ×3, first 2 shown]
	v_fma_f16 v2, v2, -0.5, v11
	v_fma_f16 v7, v7, -0.5, v18
	v_sub_f16_e32 v11, v3, v10
	v_fma_f16 v16, v11, s0, v7
	v_fma_f16 v7, v11, s1, v7
	v_add_f16_e32 v11, v1, v3
	v_add_f16_e32 v3, v3, v10
	v_sub_f16_e32 v4, v4, v6
	v_fma_f16 v1, v3, -0.5, v1
	v_sub_f16_e32 v3, v5, v9
	v_add_f16_e32 v13, v13, v6
	v_fma_f16 v6, v4, s1, v2
	v_fma_f16 v2, v4, s0, v2
	v_add_f16_e32 v4, v18, v5
	v_fma_f16 v5, v3, s1, v1
	v_add_f16_e32 v4, v4, v9
	v_fma_f16 v1, v3, s0, v1
	v_mul_f16_e32 v9, 0xbaee, v5
	v_mul_f16_e32 v5, 0.5, v5
	v_add_f16_e32 v11, v11, v10
	v_fma_f16 v9, v16, 0.5, v9
	v_mul_f16_e32 v17, 0xbaee, v1
	v_fma_f16 v5, v16, s1, v5
	v_mul_f16_e32 v1, -0.5, v1
	v_add_f16_e32 v3, v13, v4
	v_add_f16_e32 v10, v15, v9
	v_fma_f16 v17, v7, -0.5, v17
	v_add_f16_e32 v19, v14, v11
	v_add_f16_e32 v16, v6, v5
	v_fma_f16 v1, v7, s1, v1
	v_add_f16_e32 v18, v0, v17
	v_add_f16_e32 v7, v2, v1
	v_sub_f16_e32 v4, v13, v4
	v_sub_f16_e32 v11, v14, v11
	;; [unrolled: 1-line block ×3, first 2 shown]
	v_pack_b32_f16 v2, v3, v19
	v_pack_b32_f16 v3, v10, v16
	v_sub_f16_e32 v9, v15, v9
	v_sub_f16_e32 v0, v0, v17
	;; [unrolled: 1-line block ×3, first 2 shown]
	ds_write2_b32 v8, v2, v3 offset1:56
	v_pack_b32_f16 v2, v18, v7
	v_pack_b32_f16 v3, v4, v11
	ds_write2_b32 v8, v2, v3 offset0:112 offset1:168
	v_pack_b32_f16 v2, v9, v5
	v_pack_b32_f16 v0, v0, v1
	v_add_u32_e32 v1, 0x200, v8
	ds_write2_b32 v1, v2, v0 offset0:96 offset1:152
	s_waitcnt lgkmcnt(0)
	s_barrier
	s_and_b64 exec, exec, vcc
	s_cbranch_execz .LBB0_23
; %bb.22:
	global_load_dword v9, v22, s[12:13]
	global_load_dword v7, v22, s[12:13] offset:168
	v_mad_u64_u32 v[2:3], s[0:1], s10, v12, 0
	v_mad_u64_u32 v[4:5], s[0:1], s8, v21, 0
	ds_read2_b32 v[0:1], v8 offset0:42 offset1:84
	ds_read_b32 v14, v8
	ds_read_b32 v10, v8 offset:1176
	v_mov_b32_e32 v6, 0x7c00
	v_mad_u64_u32 v[15:16], s[0:1], s11, v12, v[3:4]
	s_waitcnt lgkmcnt(1)
	v_lshrrev_b32_e32 v3, 16, v14
	v_mad_u64_u32 v[18:19], s[0:1], s9, v21, v[5:6]
	s_mov_b32 s14, 0x18618618
	s_mov_b32 s15, 0x3f686186
	s_movk_i32 s18, 0x1ff
	s_movk_i32 s17, 0xffe
	v_mov_b32_e32 v5, v18
	global_load_dword v23, v22, s[12:13] offset:336
	global_load_dword v24, v22, s[12:13] offset:504
	;; [unrolled: 1-line block ×6, first 2 shown]
	s_movk_i32 s16, 0x40f
	s_mov_b32 s10, 0x8000
	s_waitcnt vmcnt(7)
	v_mul_f16_sdwa v12, v3, v9 dst_sel:DWORD dst_unused:UNUSED_PAD src0_sel:DWORD src1_sel:WORD_1
	v_fma_f16 v12, v14, v9, v12
	v_mul_f16_sdwa v14, v14, v9 dst_sel:DWORD dst_unused:UNUSED_PAD src0_sel:DWORD src1_sel:WORD_1
	v_cvt_f32_f16_e32 v12, v12
	v_fma_f16 v3, v9, v3, -v14
	v_cvt_f32_f16_e32 v3, v3
	v_lshrrev_b32_e32 v9, 16, v0
	v_cvt_f64_f32_e32 v[16:17], v12
	s_waitcnt vmcnt(6)
	v_mul_f16_sdwa v12, v9, v7 dst_sel:DWORD dst_unused:UNUSED_PAD src0_sel:DWORD src1_sel:WORD_1
	v_cvt_f64_f32_e32 v[19:20], v3
	v_mov_b32_e32 v3, v15
	v_mul_f64 v[16:17], v[16:17], s[14:15]
	v_fma_f16 v12, v0, v7, v12
	v_mul_f64 v[14:15], v[19:20], s[14:15]
	v_cvt_f32_f16_e32 v12, v12
	v_lshlrev_b64 v[2:3], 2, v[2:3]
	v_mul_f16_sdwa v0, v0, v7 dst_sel:DWORD dst_unused:UNUSED_PAD src0_sel:DWORD src1_sel:WORD_1
	v_fma_f16 v0, v7, v9, -v0
	v_cvt_f32_f16_e32 v0, v0
	v_and_or_b32 v16, v17, s18, v16
	v_cmp_ne_u32_e32 vcc, 0, v16
	v_and_or_b32 v14, v15, s18, v14
	v_lshrrev_b32_e32 v18, 8, v17
	v_bfe_u32 v19, v17, 20, 11
	v_cndmask_b32_e64 v16, 0, 1, vcc
	v_cmp_ne_u32_e32 vcc, 0, v14
	v_lshrrev_b32_e32 v20, 8, v15
	v_bfe_u32 v21, v15, 20, 11
	v_sub_u32_e32 v22, 0x3f1, v19
	v_cndmask_b32_e64 v14, 0, 1, vcc
	v_and_or_b32 v16, v18, s17, v16
	v_sub_u32_e32 v27, 0x3f1, v21
	v_med3_i32 v18, v22, 0, 13
	v_and_or_b32 v14, v20, s17, v14
	v_or_b32_e32 v22, 0x1000, v16
	v_add_u32_e32 v19, 0xfffffc10, v19
	v_med3_i32 v20, v27, 0, 13
	v_cmp_ne_u32_e32 vcc, 0, v16
	v_or_b32_e32 v28, 0x1000, v14
	v_lshrrev_b32_e32 v30, v18, v22
	v_add_u32_e32 v21, 0xfffffc10, v21
	v_lshl_or_b32 v27, v19, 12, v16
	v_cndmask_b32_e64 v16, 0, 1, vcc
	v_cmp_ne_u32_e32 vcc, 0, v14
	v_lshrrev_b32_e32 v31, v20, v28
	v_lshlrev_b32_e32 v18, v18, v30
	v_lshl_or_b32 v29, v21, 12, v14
	v_cndmask_b32_e64 v14, 0, 1, vcc
	v_lshlrev_b32_e32 v20, v20, v31
	v_cmp_ne_u32_e32 vcc, v18, v22
	v_cndmask_b32_e64 v18, 0, 1, vcc
	v_cmp_ne_u32_e32 vcc, v20, v28
	v_cndmask_b32_e64 v20, 0, 1, vcc
	v_or_b32_e32 v18, v30, v18
	v_cmp_gt_i32_e32 vcc, 1, v19
	v_cndmask_b32_e32 v18, v27, v18, vcc
	v_or_b32_e32 v20, v31, v20
	v_cmp_gt_i32_e32 vcc, 1, v21
	v_and_b32_e32 v22, 7, v18
	v_cndmask_b32_e32 v20, v29, v20, vcc
	v_cmp_lt_i32_e32 vcc, 5, v22
	v_cmp_eq_u32_e64 s[0:1], 3, v22
	v_lshrrev_b32_e32 v18, 2, v18
	v_and_b32_e32 v27, 7, v20
	s_or_b64 vcc, s[0:1], vcc
	v_cmp_lt_i32_e64 s[2:3], 5, v27
	v_cmp_eq_u32_e64 s[4:5], 3, v27
	v_addc_co_u32_e32 v18, vcc, 0, v18, vcc
	v_lshrrev_b32_e32 v20, 2, v20
	s_or_b64 vcc, s[4:5], s[2:3]
	v_addc_co_u32_e32 v20, vcc, 0, v20, vcc
	v_cmp_gt_i32_e32 vcc, 31, v19
	v_cndmask_b32_e32 v18, v6, v18, vcc
	v_cmp_gt_i32_e32 vcc, 31, v21
	v_lshl_or_b32 v16, v16, 9, v6
	v_cndmask_b32_e32 v20, v6, v20, vcc
	v_cmp_eq_u32_e32 vcc, s16, v19
	v_lshl_or_b32 v14, v14, 9, v6
	v_cndmask_b32_e32 v16, v18, v16, vcc
	v_cmp_eq_u32_e32 vcc, s16, v21
	v_lshrrev_b32_e32 v17, 16, v17
	v_lshrrev_b32_e32 v15, 16, v15
	v_cndmask_b32_e32 v14, v20, v14, vcc
	v_and_or_b32 v16, v17, s10, v16
	v_and_or_b32 v17, v15, s10, v14
	v_cvt_f64_f32_e32 v[14:15], v12
	v_and_b32_e32 v16, 0xffff, v16
	v_lshl_or_b32 v12, v17, 16, v16
	v_mov_b32_e32 v16, s7
	v_mul_f64 v[14:15], v[14:15], s[14:15]
	v_add_co_u32_e32 v17, vcc, s6, v2
	v_addc_co_u32_e32 v16, vcc, v16, v3, vcc
	v_lshlrev_b64 v[2:3], 2, v[4:5]
	s_mul_hi_u32 s2, s8, 0xa8
	v_add_co_u32_e32 v2, vcc, v17, v2
	v_addc_co_u32_e32 v3, vcc, v16, v3, vcc
	v_and_or_b32 v4, v15, s18, v14
	v_cmp_ne_u32_e32 vcc, 0, v4
	v_cndmask_b32_e64 v4, 0, 1, vcc
	v_lshrrev_b32_e32 v5, 8, v15
	global_store_dword v[2:3], v12, off
	v_and_or_b32 v12, v5, s17, v4
	v_bfe_u32 v5, v15, 20, 11
	v_sub_u32_e32 v14, 0x3f1, v5
	v_or_b32_e32 v4, 0x1000, v12
	v_med3_i32 v14, v14, 0, 13
	v_lshrrev_b32_e32 v16, v14, v4
	v_lshlrev_b32_e32 v14, v14, v16
	v_cmp_ne_u32_e32 vcc, v14, v4
	v_cndmask_b32_e64 v4, 0, 1, vcc
	v_add_u32_e32 v14, 0xfffffc10, v5
	v_or_b32_e32 v4, v16, v4
	v_lshl_or_b32 v5, v14, 12, v12
	v_cmp_gt_i32_e32 vcc, 1, v14
	v_cndmask_b32_e32 v4, v5, v4, vcc
	v_and_b32_e32 v5, 7, v4
	v_cmp_lt_i32_e32 vcc, 5, v5
	v_cmp_eq_u32_e64 s[0:1], 3, v5
	v_lshrrev_b32_e32 v7, 2, v4
	v_cvt_f64_f32_e32 v[4:5], v0
	s_or_b64 vcc, s[0:1], vcc
	v_addc_co_u32_e32 v0, vcc, 0, v7, vcc
	v_mul_f64 v[4:5], v[4:5], s[14:15]
	v_cmp_gt_i32_e32 vcc, 31, v14
	v_cndmask_b32_e32 v0, v6, v0, vcc
	v_cmp_ne_u32_e32 vcc, 0, v12
	v_cndmask_b32_e64 v7, 0, 1, vcc
	v_lshl_or_b32 v7, v7, 9, v6
	v_cmp_eq_u32_e32 vcc, s16, v14
	v_cndmask_b32_e32 v0, v0, v7, vcc
	v_and_or_b32 v4, v5, s18, v4
	v_lshrrev_b32_e32 v7, 16, v15
	v_cmp_ne_u32_e32 vcc, 0, v4
	v_and_or_b32 v0, v7, s10, v0
	v_cndmask_b32_e64 v4, 0, 1, vcc
	v_lshrrev_b32_e32 v7, 8, v5
	v_bfe_u32 v9, v5, 20, 11
	v_and_or_b32 v4, v7, s17, v4
	v_sub_u32_e32 v12, 0x3f1, v9
	v_or_b32_e32 v7, 0x1000, v4
	v_med3_i32 v12, v12, 0, 13
	v_lshrrev_b32_e32 v14, v12, v7
	v_lshlrev_b32_e32 v12, v12, v14
	v_cmp_ne_u32_e32 vcc, v12, v7
	v_cndmask_b32_e64 v7, 0, 1, vcc
	v_add_u32_e32 v9, 0xfffffc10, v9
	v_or_b32_e32 v7, v14, v7
	v_lshl_or_b32 v12, v9, 12, v4
	v_cmp_gt_i32_e32 vcc, 1, v9
	v_cndmask_b32_e32 v7, v12, v7, vcc
	v_and_b32_e32 v12, 7, v7
	v_cmp_lt_i32_e32 vcc, 5, v12
	v_cmp_eq_u32_e64 s[0:1], 3, v12
	v_lshrrev_b32_e32 v7, 2, v7
	s_or_b64 vcc, s[0:1], vcc
	v_addc_co_u32_e32 v7, vcc, 0, v7, vcc
	v_cmp_gt_i32_e32 vcc, 31, v9
	v_cndmask_b32_e32 v7, v6, v7, vcc
	v_cmp_ne_u32_e32 vcc, 0, v4
	v_cndmask_b32_e64 v4, 0, 1, vcc
	v_lshl_or_b32 v4, v4, 9, v6
	v_cmp_eq_u32_e32 vcc, s16, v9
	v_cndmask_b32_e32 v4, v7, v4, vcc
	v_lshrrev_b32_e32 v7, 16, v1
	s_waitcnt vmcnt(6)
	v_mul_f16_sdwa v9, v7, v23 dst_sel:DWORD dst_unused:UNUSED_PAD src0_sel:DWORD src1_sel:WORD_1
	v_fma_f16 v9, v1, v23, v9
	v_cvt_f32_f16_e32 v9, v9
	v_lshrrev_b32_e32 v5, 16, v5
	v_and_or_b32 v4, v5, s10, v4
	v_and_b32_e32 v0, 0xffff, v0
	v_lshl_or_b32 v0, v4, 16, v0
	v_cvt_f64_f32_e32 v[4:5], v9
	s_mul_i32 s0, s9, 0xa8
	s_add_i32 s2, s2, s0
	s_mul_i32 s3, s8, 0xa8
	v_mul_f64 v[4:5], v[4:5], s[14:15]
	v_mov_b32_e32 v9, s2
	v_add_co_u32_e32 v2, vcc, s3, v2
	v_addc_co_u32_e32 v3, vcc, v3, v9, vcc
	global_store_dword v[2:3], v0, off
	v_mul_f16_sdwa v1, v1, v23 dst_sel:DWORD dst_unused:UNUSED_PAD src0_sel:DWORD src1_sel:WORD_1
	v_and_or_b32 v0, v5, s18, v4
	v_cmp_ne_u32_e32 vcc, 0, v0
	v_cndmask_b32_e64 v0, 0, 1, vcc
	v_lshrrev_b32_e32 v4, 8, v5
	v_bfe_u32 v9, v5, 20, 11
	v_and_or_b32 v4, v4, s17, v0
	v_sub_u32_e32 v12, 0x3f1, v9
	v_or_b32_e32 v0, 0x1000, v4
	v_med3_i32 v12, v12, 0, 13
	v_lshrrev_b32_e32 v14, v12, v0
	v_lshlrev_b32_e32 v12, v12, v14
	v_fma_f16 v1, v23, v7, -v1
	v_cmp_ne_u32_e32 vcc, v12, v0
	v_cvt_f32_f16_e32 v1, v1
	v_cndmask_b32_e64 v0, 0, 1, vcc
	v_add_u32_e32 v9, 0xfffffc10, v9
	v_or_b32_e32 v0, v14, v0
	v_lshl_or_b32 v12, v9, 12, v4
	v_cmp_gt_i32_e32 vcc, 1, v9
	v_cndmask_b32_e32 v0, v12, v0, vcc
	v_and_b32_e32 v12, 7, v0
	v_lshrrev_b32_e32 v7, 2, v0
	v_cvt_f64_f32_e32 v[0:1], v1
	v_cmp_lt_i32_e32 vcc, 5, v12
	v_cmp_eq_u32_e64 s[0:1], 3, v12
	s_or_b64 vcc, s[0:1], vcc
	v_mul_f64 v[0:1], v[0:1], s[14:15]
	v_addc_co_u32_e32 v7, vcc, 0, v7, vcc
	v_cmp_gt_i32_e32 vcc, 31, v9
	v_cndmask_b32_e32 v7, v6, v7, vcc
	v_cmp_ne_u32_e32 vcc, 0, v4
	v_cndmask_b32_e64 v4, 0, 1, vcc
	v_lshl_or_b32 v4, v4, 9, v6
	v_cmp_eq_u32_e32 vcc, s16, v9
	v_and_or_b32 v0, v1, s18, v0
	v_cndmask_b32_e32 v4, v7, v4, vcc
	v_lshrrev_b32_e32 v5, 16, v5
	v_cmp_ne_u32_e32 vcc, 0, v0
	v_and_or_b32 v7, v5, s10, v4
	v_cndmask_b32_e64 v0, 0, 1, vcc
	v_lshrrev_b32_e32 v4, 8, v1
	v_bfe_u32 v5, v1, 20, 11
	v_and_or_b32 v0, v4, s17, v0
	v_sub_u32_e32 v9, 0x3f1, v5
	v_or_b32_e32 v4, 0x1000, v0
	v_med3_i32 v9, v9, 0, 13
	v_lshrrev_b32_e32 v12, v9, v4
	v_lshlrev_b32_e32 v9, v9, v12
	v_cmp_ne_u32_e32 vcc, v9, v4
	v_cndmask_b32_e64 v4, 0, 1, vcc
	v_add_u32_e32 v9, 0xfffffc10, v5
	v_or_b32_e32 v4, v12, v4
	v_lshl_or_b32 v5, v9, 12, v0
	v_cmp_gt_i32_e32 vcc, 1, v9
	v_cndmask_b32_e32 v4, v5, v4, vcc
	v_and_b32_e32 v5, 7, v4
	v_cmp_lt_i32_e32 vcc, 5, v5
	v_cmp_eq_u32_e64 s[0:1], 3, v5
	v_lshrrev_b32_e32 v4, 2, v4
	s_or_b64 vcc, s[0:1], vcc
	v_addc_co_u32_e32 v12, vcc, 0, v4, vcc
	ds_read2_b32 v[4:5], v8 offset0:126 offset1:168
	v_cmp_gt_i32_e32 vcc, 31, v9
	v_cndmask_b32_e32 v12, v6, v12, vcc
	v_cmp_ne_u32_e32 vcc, 0, v0
	v_cndmask_b32_e64 v0, 0, 1, vcc
	s_waitcnt lgkmcnt(0)
	v_lshrrev_b32_e32 v16, 16, v4
	s_waitcnt vmcnt(6)
	v_mul_f16_sdwa v14, v16, v24 dst_sel:DWORD dst_unused:UNUSED_PAD src0_sel:DWORD src1_sel:WORD_1
	v_fma_f16 v14, v4, v24, v14
	v_cvt_f32_f16_e32 v14, v14
	v_lshl_or_b32 v0, v0, 9, v6
	v_cmp_eq_u32_e32 vcc, s16, v9
	v_cndmask_b32_e32 v0, v12, v0, vcc
	v_cvt_f64_f32_e32 v[14:15], v14
	v_lshrrev_b32_e32 v1, 16, v1
	v_and_or_b32 v9, v1, s10, v0
	v_and_b32_e32 v7, 0xffff, v7
	v_mul_f64 v[0:1], v[14:15], s[14:15]
	v_lshl_or_b32 v7, v9, 16, v7
	v_mov_b32_e32 v9, s2
	v_add_co_u32_e32 v2, vcc, s3, v2
	v_addc_co_u32_e32 v3, vcc, v3, v9, vcc
	global_store_dword v[2:3], v7, off
	v_and_or_b32 v0, v1, s18, v0
	v_cmp_ne_u32_e32 vcc, 0, v0
	v_cndmask_b32_e64 v0, 0, 1, vcc
	v_lshrrev_b32_e32 v7, 8, v1
	v_bfe_u32 v9, v1, 20, 11
	v_and_or_b32 v0, v7, s17, v0
	v_sub_u32_e32 v12, 0x3f1, v9
	v_mul_f16_sdwa v4, v4, v24 dst_sel:DWORD dst_unused:UNUSED_PAD src0_sel:DWORD src1_sel:WORD_1
	v_or_b32_e32 v7, 0x1000, v0
	v_med3_i32 v12, v12, 0, 13
	v_fma_f16 v4, v24, v16, -v4
	v_lshrrev_b32_e32 v14, v12, v7
	v_cvt_f32_f16_e32 v4, v4
	v_lshlrev_b32_e32 v12, v12, v14
	v_cmp_ne_u32_e32 vcc, v12, v7
	v_cndmask_b32_e64 v7, 0, 1, vcc
	v_or_b32_e32 v7, v14, v7
	v_add_u32_e32 v9, 0xfffffc10, v9
	v_cvt_f64_f32_e32 v[14:15], v4
	v_lshl_or_b32 v12, v9, 12, v0
	v_cmp_gt_i32_e32 vcc, 1, v9
	v_cndmask_b32_e32 v7, v12, v7, vcc
	v_and_b32_e32 v12, 7, v7
	v_cmp_lt_i32_e32 vcc, 5, v12
	v_cmp_eq_u32_e64 s[0:1], 3, v12
	v_mul_f64 v[14:15], v[14:15], s[14:15]
	v_lshrrev_b32_e32 v7, 2, v7
	s_or_b64 vcc, s[0:1], vcc
	v_addc_co_u32_e32 v4, vcc, 0, v7, vcc
	v_cmp_gt_i32_e32 vcc, 31, v9
	v_cndmask_b32_e32 v4, v6, v4, vcc
	v_cmp_ne_u32_e32 vcc, 0, v0
	v_cndmask_b32_e64 v0, 0, 1, vcc
	v_lshl_or_b32 v0, v0, 9, v6
	v_cmp_eq_u32_e32 vcc, s16, v9
	v_cndmask_b32_e32 v0, v4, v0, vcc
	v_lshrrev_b32_e32 v1, 16, v1
	v_and_or_b32 v4, v1, s10, v0
	v_and_or_b32 v0, v15, s18, v14
	v_cmp_ne_u32_e32 vcc, 0, v0
	v_cndmask_b32_e64 v0, 0, 1, vcc
	v_lshrrev_b32_e32 v1, 8, v15
	v_bfe_u32 v7, v15, 20, 11
	v_and_or_b32 v0, v1, s17, v0
	v_sub_u32_e32 v9, 0x3f1, v7
	v_or_b32_e32 v1, 0x1000, v0
	v_med3_i32 v9, v9, 0, 13
	v_lshrrev_b32_e32 v12, v9, v1
	v_lshlrev_b32_e32 v9, v9, v12
	v_cmp_ne_u32_e32 vcc, v9, v1
	v_cndmask_b32_e64 v1, 0, 1, vcc
	v_add_u32_e32 v7, 0xfffffc10, v7
	v_or_b32_e32 v1, v12, v1
	v_lshl_or_b32 v9, v7, 12, v0
	v_cmp_gt_i32_e32 vcc, 1, v7
	v_cndmask_b32_e32 v1, v9, v1, vcc
	v_and_b32_e32 v9, 7, v1
	v_cmp_lt_i32_e32 vcc, 5, v9
	v_cmp_eq_u32_e64 s[0:1], 3, v9
	v_lshrrev_b32_e32 v9, 16, v5
	v_lshrrev_b32_e32 v1, 2, v1
	s_or_b64 vcc, s[0:1], vcc
	s_waitcnt vmcnt(6)
	v_mul_f16_sdwa v12, v9, v25 dst_sel:DWORD dst_unused:UNUSED_PAD src0_sel:DWORD src1_sel:WORD_1
	v_addc_co_u32_e32 v1, vcc, 0, v1, vcc
	v_fma_f16 v12, v5, v25, v12
	v_cmp_gt_i32_e32 vcc, 31, v7
	v_cvt_f32_f16_e32 v12, v12
	v_cndmask_b32_e32 v1, v6, v1, vcc
	v_cmp_ne_u32_e32 vcc, 0, v0
	v_cndmask_b32_e64 v0, 0, 1, vcc
	v_lshl_or_b32 v0, v0, 9, v6
	v_cmp_eq_u32_e32 vcc, s16, v7
	v_cndmask_b32_e32 v7, v1, v0, vcc
	v_cvt_f64_f32_e32 v[0:1], v12
	v_lshrrev_b32_e32 v12, 16, v15
	v_and_or_b32 v7, v12, s10, v7
	v_and_b32_e32 v4, 0xffff, v4
	v_mul_f64 v[0:1], v[0:1], s[14:15]
	v_lshl_or_b32 v4, v7, 16, v4
	v_mov_b32_e32 v7, s2
	v_add_co_u32_e32 v2, vcc, s3, v2
	v_addc_co_u32_e32 v3, vcc, v3, v7, vcc
	global_store_dword v[2:3], v4, off
	v_and_or_b32 v0, v1, s18, v0
	v_cmp_ne_u32_e32 vcc, 0, v0
	v_cndmask_b32_e64 v0, 0, 1, vcc
	v_lshrrev_b32_e32 v4, 8, v1
	v_bfe_u32 v7, v1, 20, 11
	v_and_or_b32 v0, v4, s17, v0
	v_sub_u32_e32 v12, 0x3f1, v7
	v_or_b32_e32 v4, 0x1000, v0
	v_med3_i32 v12, v12, 0, 13
	v_lshrrev_b32_e32 v14, v12, v4
	v_mul_f16_sdwa v5, v5, v25 dst_sel:DWORD dst_unused:UNUSED_PAD src0_sel:DWORD src1_sel:WORD_1
	v_lshlrev_b32_e32 v12, v12, v14
	v_fma_f16 v5, v25, v9, -v5
	v_cmp_ne_u32_e32 vcc, v12, v4
	v_cvt_f32_f16_e32 v5, v5
	v_cndmask_b32_e64 v4, 0, 1, vcc
	v_add_u32_e32 v7, 0xfffffc10, v7
	v_or_b32_e32 v4, v14, v4
	v_lshl_or_b32 v12, v7, 12, v0
	v_cmp_gt_i32_e32 vcc, 1, v7
	v_cndmask_b32_e32 v4, v12, v4, vcc
	v_and_b32_e32 v12, 7, v4
	v_lshrrev_b32_e32 v9, 2, v4
	v_cvt_f64_f32_e32 v[4:5], v5
	v_cmp_lt_i32_e32 vcc, 5, v12
	v_cmp_eq_u32_e64 s[0:1], 3, v12
	s_or_b64 vcc, s[0:1], vcc
	v_mul_f64 v[4:5], v[4:5], s[14:15]
	v_addc_co_u32_e32 v9, vcc, 0, v9, vcc
	v_cmp_gt_i32_e32 vcc, 31, v7
	v_cndmask_b32_e32 v9, v6, v9, vcc
	v_cmp_ne_u32_e32 vcc, 0, v0
	v_cndmask_b32_e64 v0, 0, 1, vcc
	v_lshl_or_b32 v0, v0, 9, v6
	v_cmp_eq_u32_e32 vcc, s16, v7
	v_cndmask_b32_e32 v0, v9, v0, vcc
	v_lshrrev_b32_e32 v1, 16, v1
	v_and_or_b32 v9, v1, s10, v0
	v_and_or_b32 v0, v5, s18, v4
	v_cmp_ne_u32_e32 vcc, 0, v0
	v_cndmask_b32_e64 v0, 0, 1, vcc
	v_lshrrev_b32_e32 v1, 8, v5
	v_and_or_b32 v4, v1, s17, v0
	v_bfe_u32 v1, v5, 20, 11
	v_sub_u32_e32 v7, 0x3f1, v1
	v_or_b32_e32 v0, 0x1000, v4
	v_med3_i32 v7, v7, 0, 13
	v_lshrrev_b32_e32 v12, v7, v0
	v_lshlrev_b32_e32 v7, v7, v12
	v_cmp_ne_u32_e32 vcc, v7, v0
	v_cndmask_b32_e64 v0, 0, 1, vcc
	v_add_u32_e32 v7, 0xfffffc10, v1
	v_or_b32_e32 v0, v12, v0
	v_lshl_or_b32 v1, v7, 12, v4
	v_cmp_gt_i32_e32 vcc, 1, v7
	v_cndmask_b32_e32 v0, v1, v0, vcc
	v_and_b32_e32 v1, 7, v0
	v_cmp_lt_i32_e32 vcc, 5, v1
	v_cmp_eq_u32_e64 s[0:1], 3, v1
	v_lshrrev_b32_e32 v0, 2, v0
	s_or_b64 vcc, s[0:1], vcc
	v_addc_co_u32_e32 v12, vcc, 0, v0, vcc
	ds_read2_b32 v[0:1], v8 offset0:210 offset1:252
	v_cmp_gt_i32_e32 vcc, 31, v7
	v_cndmask_b32_e32 v8, v6, v12, vcc
	v_cmp_ne_u32_e32 vcc, 0, v4
	v_cndmask_b32_e64 v4, 0, 1, vcc
	s_waitcnt lgkmcnt(0)
	v_lshrrev_b32_e32 v12, 16, v0
	s_waitcnt vmcnt(6)
	v_mul_f16_sdwa v14, v12, v26 dst_sel:DWORD dst_unused:UNUSED_PAD src0_sel:DWORD src1_sel:WORD_1
	v_fma_f16 v14, v0, v26, v14
	v_cvt_f32_f16_e32 v14, v14
	v_lshl_or_b32 v4, v4, 9, v6
	v_cmp_eq_u32_e32 vcc, s16, v7
	v_cndmask_b32_e32 v4, v8, v4, vcc
	v_cvt_f64_f32_e32 v[7:8], v14
	v_lshrrev_b32_e32 v5, 16, v5
	v_and_or_b32 v14, v5, s10, v4
	v_add_co_u32_e32 v2, vcc, s3, v2
	v_mul_f64 v[4:5], v[7:8], s[14:15]
	v_mov_b32_e32 v8, s2
	v_and_b32_e32 v9, 0xffff, v9
	v_addc_co_u32_e32 v3, vcc, v3, v8, vcc
	v_lshl_or_b32 v7, v14, 16, v9
	global_store_dword v[2:3], v7, off
	v_mul_f16_sdwa v0, v0, v26 dst_sel:DWORD dst_unused:UNUSED_PAD src0_sel:DWORD src1_sel:WORD_1
	v_and_or_b32 v4, v5, s18, v4
	v_cmp_ne_u32_e32 vcc, 0, v4
	v_cndmask_b32_e64 v4, 0, 1, vcc
	v_lshrrev_b32_e32 v7, 8, v5
	v_bfe_u32 v8, v5, 20, 11
	v_and_or_b32 v4, v7, s17, v4
	v_sub_u32_e32 v9, 0x3f1, v8
	v_or_b32_e32 v7, 0x1000, v4
	v_med3_i32 v9, v9, 0, 13
	v_lshrrev_b32_e32 v14, v9, v7
	v_lshlrev_b32_e32 v9, v9, v14
	v_cmp_ne_u32_e32 vcc, v9, v7
	v_fma_f16 v0, v26, v12, -v0
	v_cndmask_b32_e64 v7, 0, 1, vcc
	v_add_u32_e32 v9, 0xfffffc10, v8
	v_cvt_f32_f16_e32 v0, v0
	v_or_b32_e32 v7, v14, v7
	v_lshl_or_b32 v8, v9, 12, v4
	v_cmp_gt_i32_e32 vcc, 1, v9
	v_cndmask_b32_e32 v7, v8, v7, vcc
	v_and_b32_e32 v8, 7, v7
	v_cmp_lt_i32_e32 vcc, 5, v8
	v_cmp_eq_u32_e64 s[0:1], 3, v8
	v_lshrrev_b32_e32 v12, 2, v7
	v_cvt_f64_f32_e32 v[7:8], v0
	s_or_b64 vcc, s[0:1], vcc
	v_addc_co_u32_e32 v0, vcc, 0, v12, vcc
	v_mul_f64 v[7:8], v[7:8], s[14:15]
	v_cmp_gt_i32_e32 vcc, 31, v9
	v_cndmask_b32_e32 v0, v6, v0, vcc
	v_cmp_ne_u32_e32 vcc, 0, v4
	v_cndmask_b32_e64 v4, 0, 1, vcc
	v_lshl_or_b32 v4, v4, 9, v6
	v_cmp_eq_u32_e32 vcc, s16, v9
	v_cndmask_b32_e32 v0, v0, v4, vcc
	v_lshrrev_b32_e32 v4, 16, v5
	v_and_or_b32 v0, v4, s10, v0
	v_and_or_b32 v4, v8, s18, v7
	v_cmp_ne_u32_e32 vcc, 0, v4
	v_cndmask_b32_e64 v4, 0, 1, vcc
	v_lshrrev_b32_e32 v5, 8, v8
	v_bfe_u32 v7, v8, 20, 11
	v_and_or_b32 v4, v5, s17, v4
	v_sub_u32_e32 v9, 0x3f1, v7
	v_or_b32_e32 v5, 0x1000, v4
	v_med3_i32 v9, v9, 0, 13
	v_lshrrev_b32_e32 v12, v9, v5
	v_lshlrev_b32_e32 v9, v9, v12
	v_cmp_ne_u32_e32 vcc, v9, v5
	v_cndmask_b32_e64 v5, 0, 1, vcc
	v_add_u32_e32 v7, 0xfffffc10, v7
	v_or_b32_e32 v5, v12, v5
	v_lshl_or_b32 v9, v7, 12, v4
	v_cmp_gt_i32_e32 vcc, 1, v7
	v_cndmask_b32_e32 v5, v9, v5, vcc
	v_and_b32_e32 v9, 7, v5
	v_cmp_lt_i32_e32 vcc, 5, v9
	v_cmp_eq_u32_e64 s[0:1], 3, v9
	v_lshrrev_b32_e32 v9, 16, v1
	v_lshrrev_b32_e32 v5, 2, v5
	s_or_b64 vcc, s[0:1], vcc
	s_waitcnt vmcnt(6)
	v_mul_f16_sdwa v12, v9, v13 dst_sel:DWORD dst_unused:UNUSED_PAD src0_sel:DWORD src1_sel:WORD_1
	v_addc_co_u32_e32 v5, vcc, 0, v5, vcc
	v_fma_f16 v12, v1, v13, v12
	v_cmp_gt_i32_e32 vcc, 31, v7
	v_cvt_f32_f16_e32 v12, v12
	v_cndmask_b32_e32 v5, v6, v5, vcc
	v_cmp_ne_u32_e32 vcc, 0, v4
	v_cndmask_b32_e64 v4, 0, 1, vcc
	v_lshl_or_b32 v4, v4, 9, v6
	v_cmp_eq_u32_e32 vcc, s16, v7
	v_cndmask_b32_e32 v7, v5, v4, vcc
	v_cvt_f64_f32_e32 v[4:5], v12
	v_lshrrev_b32_e32 v8, 16, v8
	v_and_or_b32 v7, v8, s10, v7
	v_and_b32_e32 v0, 0xffff, v0
	v_mul_f64 v[4:5], v[4:5], s[14:15]
	v_lshl_or_b32 v0, v7, 16, v0
	v_mov_b32_e32 v7, s2
	v_add_co_u32_e32 v2, vcc, s3, v2
	v_addc_co_u32_e32 v3, vcc, v3, v7, vcc
	global_store_dword v[2:3], v0, off
	v_and_or_b32 v0, v5, s18, v4
	v_cmp_ne_u32_e32 vcc, 0, v0
	v_cndmask_b32_e64 v0, 0, 1, vcc
	v_lshrrev_b32_e32 v4, 8, v5
	v_bfe_u32 v7, v5, 20, 11
	v_and_or_b32 v4, v4, s17, v0
	v_sub_u32_e32 v8, 0x3f1, v7
	v_or_b32_e32 v0, 0x1000, v4
	v_med3_i32 v8, v8, 0, 13
	v_lshrrev_b32_e32 v12, v8, v0
	v_lshlrev_b32_e32 v8, v8, v12
	v_mul_f16_sdwa v1, v1, v13 dst_sel:DWORD dst_unused:UNUSED_PAD src0_sel:DWORD src1_sel:WORD_1
	v_cmp_ne_u32_e32 vcc, v8, v0
	v_fma_f16 v1, v13, v9, -v1
	v_cndmask_b32_e64 v0, 0, 1, vcc
	v_add_u32_e32 v7, 0xfffffc10, v7
	v_cvt_f32_f16_e32 v1, v1
	v_or_b32_e32 v0, v12, v0
	v_lshl_or_b32 v8, v7, 12, v4
	v_cmp_gt_i32_e32 vcc, 1, v7
	v_cndmask_b32_e32 v0, v8, v0, vcc
	v_and_b32_e32 v8, 7, v0
	v_cmp_lt_i32_e32 vcc, 5, v8
	v_cmp_eq_u32_e64 s[0:1], 3, v8
	v_lshrrev_b32_e32 v8, 2, v0
	v_cvt_f64_f32_e32 v[0:1], v1
	s_or_b64 vcc, s[0:1], vcc
	v_addc_co_u32_e32 v8, vcc, 0, v8, vcc
	v_mul_f64 v[0:1], v[0:1], s[14:15]
	v_cmp_gt_i32_e32 vcc, 31, v7
	v_cndmask_b32_e32 v8, v6, v8, vcc
	v_cmp_ne_u32_e32 vcc, 0, v4
	v_cndmask_b32_e64 v4, 0, 1, vcc
	v_lshl_or_b32 v4, v4, 9, v6
	v_cmp_eq_u32_e32 vcc, s16, v7
	v_cndmask_b32_e32 v4, v8, v4, vcc
	v_and_or_b32 v0, v1, s18, v0
	v_lshrrev_b32_e32 v5, 16, v5
	v_cmp_ne_u32_e32 vcc, 0, v0
	v_and_or_b32 v7, v5, s10, v4
	v_cndmask_b32_e64 v0, 0, 1, vcc
	v_lshrrev_b32_e32 v4, 8, v1
	v_bfe_u32 v5, v1, 20, 11
	v_and_or_b32 v0, v4, s17, v0
	v_sub_u32_e32 v8, 0x3f1, v5
	v_or_b32_e32 v4, 0x1000, v0
	v_med3_i32 v8, v8, 0, 13
	v_lshrrev_b32_e32 v9, v8, v4
	v_lshlrev_b32_e32 v8, v8, v9
	v_cmp_ne_u32_e32 vcc, v8, v4
	v_cndmask_b32_e64 v4, 0, 1, vcc
	v_add_u32_e32 v5, 0xfffffc10, v5
	v_or_b32_e32 v4, v9, v4
	v_lshl_or_b32 v8, v5, 12, v0
	v_cmp_gt_i32_e32 vcc, 1, v5
	v_cndmask_b32_e32 v4, v8, v4, vcc
	v_and_b32_e32 v8, 7, v4
	v_cmp_lt_i32_e32 vcc, 5, v8
	v_cmp_eq_u32_e64 s[0:1], 3, v8
	v_lshrrev_b32_e32 v8, 16, v10
	v_lshrrev_b32_e32 v4, 2, v4
	s_or_b64 vcc, s[0:1], vcc
	s_waitcnt vmcnt(6)
	v_mul_f16_sdwa v9, v8, v11 dst_sel:DWORD dst_unused:UNUSED_PAD src0_sel:DWORD src1_sel:WORD_1
	v_addc_co_u32_e32 v4, vcc, 0, v4, vcc
	v_fma_f16 v9, v10, v11, v9
	v_cmp_gt_i32_e32 vcc, 31, v5
	v_cvt_f32_f16_e32 v9, v9
	v_cndmask_b32_e32 v4, v6, v4, vcc
	v_cmp_ne_u32_e32 vcc, 0, v0
	v_cndmask_b32_e64 v0, 0, 1, vcc
	v_lshl_or_b32 v0, v0, 9, v6
	v_cmp_eq_u32_e32 vcc, s16, v5
	v_cndmask_b32_e32 v0, v4, v0, vcc
	v_cvt_f64_f32_e32 v[4:5], v9
	v_lshrrev_b32_e32 v1, 16, v1
	v_and_or_b32 v9, v1, s10, v0
	v_add_co_u32_e32 v2, vcc, s3, v2
	v_mul_f64 v[0:1], v[4:5], s[14:15]
	v_mov_b32_e32 v5, s2
	v_and_b32_e32 v7, 0xffff, v7
	v_addc_co_u32_e32 v3, vcc, v3, v5, vcc
	v_lshl_or_b32 v4, v9, 16, v7
	global_store_dword v[2:3], v4, off
	v_and_or_b32 v0, v1, s18, v0
	v_cmp_ne_u32_e32 vcc, 0, v0
	v_cndmask_b32_e64 v0, 0, 1, vcc
	v_lshrrev_b32_e32 v4, 8, v1
	v_bfe_u32 v5, v1, 20, 11
	v_and_or_b32 v0, v4, s17, v0
	v_sub_u32_e32 v7, 0x3f1, v5
	v_or_b32_e32 v4, 0x1000, v0
	v_med3_i32 v7, v7, 0, 13
	v_lshrrev_b32_e32 v9, v7, v4
	v_lshlrev_b32_e32 v7, v7, v9
	v_cmp_ne_u32_e32 vcc, v7, v4
	v_cndmask_b32_e64 v4, 0, 1, vcc
	v_or_b32_e32 v4, v9, v4
	v_mul_f16_sdwa v9, v10, v11 dst_sel:DWORD dst_unused:UNUSED_PAD src0_sel:DWORD src1_sel:WORD_1
	v_fma_f16 v8, v11, v8, -v9
	v_add_u32_e32 v7, 0xfffffc10, v5
	v_cvt_f32_f16_e32 v8, v8
	v_lshl_or_b32 v5, v7, 12, v0
	v_cmp_gt_i32_e32 vcc, 1, v7
	v_cndmask_b32_e32 v4, v5, v4, vcc
	v_and_b32_e32 v5, 7, v4
	v_cmp_lt_i32_e32 vcc, 5, v5
	v_cmp_eq_u32_e64 s[0:1], 3, v5
	v_lshrrev_b32_e32 v9, 2, v4
	v_cvt_f64_f32_e32 v[4:5], v8
	s_or_b64 vcc, s[0:1], vcc
	v_addc_co_u32_e32 v8, vcc, 0, v9, vcc
	v_mul_f64 v[4:5], v[4:5], s[14:15]
	v_cmp_gt_i32_e32 vcc, 31, v7
	v_cndmask_b32_e32 v8, v6, v8, vcc
	v_cmp_ne_u32_e32 vcc, 0, v0
	v_cndmask_b32_e64 v0, 0, 1, vcc
	v_lshl_or_b32 v0, v0, 9, v6
	v_cmp_eq_u32_e32 vcc, s16, v7
	v_cndmask_b32_e32 v0, v8, v0, vcc
	v_lshrrev_b32_e32 v1, 16, v1
	v_and_or_b32 v0, v1, s10, v0
	v_and_or_b32 v1, v5, s18, v4
	v_cmp_ne_u32_e32 vcc, 0, v1
	v_cndmask_b32_e64 v1, 0, 1, vcc
	v_lshrrev_b32_e32 v4, 8, v5
	v_bfe_u32 v7, v5, 20, 11
	v_and_or_b32 v1, v4, s17, v1
	v_sub_u32_e32 v8, 0x3f1, v7
	v_or_b32_e32 v4, 0x1000, v1
	v_med3_i32 v8, v8, 0, 13
	v_lshrrev_b32_e32 v9, v8, v4
	v_lshlrev_b32_e32 v8, v8, v9
	v_cmp_ne_u32_e32 vcc, v8, v4
	v_cndmask_b32_e64 v4, 0, 1, vcc
	v_add_u32_e32 v7, 0xfffffc10, v7
	v_or_b32_e32 v4, v9, v4
	v_lshl_or_b32 v8, v7, 12, v1
	v_cmp_gt_i32_e32 vcc, 1, v7
	v_cndmask_b32_e32 v4, v8, v4, vcc
	v_and_b32_e32 v8, 7, v4
	v_cmp_lt_i32_e32 vcc, 5, v8
	v_cmp_eq_u32_e64 s[0:1], 3, v8
	v_lshrrev_b32_e32 v4, 2, v4
	s_or_b64 vcc, s[0:1], vcc
	v_addc_co_u32_e32 v4, vcc, 0, v4, vcc
	v_cmp_gt_i32_e32 vcc, 31, v7
	v_cndmask_b32_e32 v4, v6, v4, vcc
	v_cmp_ne_u32_e32 vcc, 0, v1
	v_cndmask_b32_e64 v1, 0, 1, vcc
	v_lshl_or_b32 v1, v1, 9, v6
	v_cmp_eq_u32_e32 vcc, s16, v7
	v_cndmask_b32_e32 v1, v4, v1, vcc
	v_lshrrev_b32_e32 v4, 16, v5
	v_and_or_b32 v1, v4, s10, v1
	v_and_b32_e32 v0, 0xffff, v0
	v_lshl_or_b32 v4, v1, 16, v0
	v_mov_b32_e32 v1, s2
	v_add_co_u32_e32 v0, vcc, s3, v2
	v_addc_co_u32_e32 v1, vcc, v3, v1, vcc
	global_store_dword v[0:1], v4, off
.LBB0_23:
	s_endpgm
	.section	.rodata,"a",@progbits
	.p2align	6, 0x0
	.amdhsa_kernel bluestein_single_back_len336_dim1_half_op_CI_CI
		.amdhsa_group_segment_fixed_size 2688
		.amdhsa_private_segment_fixed_size 0
		.amdhsa_kernarg_size 104
		.amdhsa_user_sgpr_count 6
		.amdhsa_user_sgpr_private_segment_buffer 1
		.amdhsa_user_sgpr_dispatch_ptr 0
		.amdhsa_user_sgpr_queue_ptr 0
		.amdhsa_user_sgpr_kernarg_segment_ptr 1
		.amdhsa_user_sgpr_dispatch_id 0
		.amdhsa_user_sgpr_flat_scratch_init 0
		.amdhsa_user_sgpr_private_segment_size 0
		.amdhsa_uses_dynamic_stack 0
		.amdhsa_system_sgpr_private_segment_wavefront_offset 0
		.amdhsa_system_sgpr_workgroup_id_x 1
		.amdhsa_system_sgpr_workgroup_id_y 0
		.amdhsa_system_sgpr_workgroup_id_z 0
		.amdhsa_system_sgpr_workgroup_info 0
		.amdhsa_system_vgpr_workitem_id 0
		.amdhsa_next_free_vgpr 46
		.amdhsa_next_free_sgpr 20
		.amdhsa_reserve_vcc 1
		.amdhsa_reserve_flat_scratch 0
		.amdhsa_float_round_mode_32 0
		.amdhsa_float_round_mode_16_64 0
		.amdhsa_float_denorm_mode_32 3
		.amdhsa_float_denorm_mode_16_64 3
		.amdhsa_dx10_clamp 1
		.amdhsa_ieee_mode 1
		.amdhsa_fp16_overflow 0
		.amdhsa_exception_fp_ieee_invalid_op 0
		.amdhsa_exception_fp_denorm_src 0
		.amdhsa_exception_fp_ieee_div_zero 0
		.amdhsa_exception_fp_ieee_overflow 0
		.amdhsa_exception_fp_ieee_underflow 0
		.amdhsa_exception_fp_ieee_inexact 0
		.amdhsa_exception_int_div_zero 0
	.end_amdhsa_kernel
	.text
.Lfunc_end0:
	.size	bluestein_single_back_len336_dim1_half_op_CI_CI, .Lfunc_end0-bluestein_single_back_len336_dim1_half_op_CI_CI
                                        ; -- End function
	.section	.AMDGPU.csdata,"",@progbits
; Kernel info:
; codeLenInByte = 9920
; NumSgprs: 24
; NumVgprs: 46
; ScratchSize: 0
; MemoryBound: 0
; FloatMode: 240
; IeeeMode: 1
; LDSByteSize: 2688 bytes/workgroup (compile time only)
; SGPRBlocks: 2
; VGPRBlocks: 11
; NumSGPRsForWavesPerEU: 24
; NumVGPRsForWavesPerEU: 46
; Occupancy: 5
; WaveLimiterHint : 1
; COMPUTE_PGM_RSRC2:SCRATCH_EN: 0
; COMPUTE_PGM_RSRC2:USER_SGPR: 6
; COMPUTE_PGM_RSRC2:TRAP_HANDLER: 0
; COMPUTE_PGM_RSRC2:TGID_X_EN: 1
; COMPUTE_PGM_RSRC2:TGID_Y_EN: 0
; COMPUTE_PGM_RSRC2:TGID_Z_EN: 0
; COMPUTE_PGM_RSRC2:TIDIG_COMP_CNT: 0
	.type	__hip_cuid_3a0dbab12b02d87,@object ; @__hip_cuid_3a0dbab12b02d87
	.section	.bss,"aw",@nobits
	.globl	__hip_cuid_3a0dbab12b02d87
__hip_cuid_3a0dbab12b02d87:
	.byte	0                               ; 0x0
	.size	__hip_cuid_3a0dbab12b02d87, 1

	.ident	"AMD clang version 19.0.0git (https://github.com/RadeonOpenCompute/llvm-project roc-6.4.0 25133 c7fe45cf4b819c5991fe208aaa96edf142730f1d)"
	.section	".note.GNU-stack","",@progbits
	.addrsig
	.addrsig_sym __hip_cuid_3a0dbab12b02d87
	.amdgpu_metadata
---
amdhsa.kernels:
  - .args:
      - .actual_access:  read_only
        .address_space:  global
        .offset:         0
        .size:           8
        .value_kind:     global_buffer
      - .actual_access:  read_only
        .address_space:  global
        .offset:         8
        .size:           8
        .value_kind:     global_buffer
      - .actual_access:  read_only
        .address_space:  global
        .offset:         16
        .size:           8
        .value_kind:     global_buffer
      - .actual_access:  read_only
        .address_space:  global
        .offset:         24
        .size:           8
        .value_kind:     global_buffer
      - .actual_access:  read_only
        .address_space:  global
        .offset:         32
        .size:           8
        .value_kind:     global_buffer
      - .offset:         40
        .size:           8
        .value_kind:     by_value
      - .address_space:  global
        .offset:         48
        .size:           8
        .value_kind:     global_buffer
      - .address_space:  global
        .offset:         56
        .size:           8
        .value_kind:     global_buffer
      - .address_space:  global
        .offset:         64
        .size:           8
        .value_kind:     global_buffer
      - .address_space:  global
        .offset:         72
        .size:           8
        .value_kind:     global_buffer
      - .offset:         80
        .size:           4
        .value_kind:     by_value
      - .address_space:  global
        .offset:         88
        .size:           8
        .value_kind:     global_buffer
      - .address_space:  global
        .offset:         96
        .size:           8
        .value_kind:     global_buffer
    .group_segment_fixed_size: 2688
    .kernarg_segment_align: 8
    .kernarg_segment_size: 104
    .language:       OpenCL C
    .language_version:
      - 2
      - 0
    .max_flat_workgroup_size: 112
    .name:           bluestein_single_back_len336_dim1_half_op_CI_CI
    .private_segment_fixed_size: 0
    .sgpr_count:     24
    .sgpr_spill_count: 0
    .symbol:         bluestein_single_back_len336_dim1_half_op_CI_CI.kd
    .uniform_work_group_size: 1
    .uses_dynamic_stack: false
    .vgpr_count:     46
    .vgpr_spill_count: 0
    .wavefront_size: 64
amdhsa.target:   amdgcn-amd-amdhsa--gfx906
amdhsa.version:
  - 1
  - 2
...

	.end_amdgpu_metadata
